;; amdgpu-corpus repo=ROCm/rocFFT kind=compiled arch=gfx1201 opt=O3
	.text
	.amdgcn_target "amdgcn-amd-amdhsa--gfx1201"
	.amdhsa_code_object_version 6
	.protected	fft_rtc_back_len1666_factors_17_2_7_7_wgs_119_tpt_119_halfLds_dp_op_CI_CI_unitstride_sbrr_dirReg ; -- Begin function fft_rtc_back_len1666_factors_17_2_7_7_wgs_119_tpt_119_halfLds_dp_op_CI_CI_unitstride_sbrr_dirReg
	.globl	fft_rtc_back_len1666_factors_17_2_7_7_wgs_119_tpt_119_halfLds_dp_op_CI_CI_unitstride_sbrr_dirReg
	.p2align	8
	.type	fft_rtc_back_len1666_factors_17_2_7_7_wgs_119_tpt_119_halfLds_dp_op_CI_CI_unitstride_sbrr_dirReg,@function
fft_rtc_back_len1666_factors_17_2_7_7_wgs_119_tpt_119_halfLds_dp_op_CI_CI_unitstride_sbrr_dirReg: ; @fft_rtc_back_len1666_factors_17_2_7_7_wgs_119_tpt_119_halfLds_dp_op_CI_CI_unitstride_sbrr_dirReg
; %bb.0:
	s_clause 0x2
	s_load_b128 s[8:11], s[0:1], 0x0
	s_load_b128 s[4:7], s[0:1], 0x58
	;; [unrolled: 1-line block ×3, first 2 shown]
	v_mul_u32_u24_e32 v1, 0x227, v0
	v_mov_b32_e32 v4, 0
	v_mov_b32_e32 v5, 0
	s_delay_alu instid0(VALU_DEP_3) | instskip(NEXT) | instid1(VALU_DEP_1)
	v_lshrrev_b32_e32 v2, 16, v1
	v_dual_mov_b32 v1, 0 :: v_dual_add_nc_u32 v6, ttmp9, v2
	s_delay_alu instid0(VALU_DEP_1) | instskip(SKIP_2) | instid1(VALU_DEP_1)
	v_mov_b32_e32 v7, v1
	s_wait_kmcnt 0x0
	v_cmp_lt_u64_e64 s2, s[10:11], 2
	s_and_b32 vcc_lo, exec_lo, s2
	s_cbranch_vccnz .LBB0_8
; %bb.1:
	s_load_b64 s[2:3], s[0:1], 0x10
	v_mov_b32_e32 v4, 0
	v_mov_b32_e32 v5, 0
	s_add_nc_u64 s[16:17], s[14:15], 8
	s_add_nc_u64 s[18:19], s[12:13], 8
	s_mov_b64 s[20:21], 1
	s_delay_alu instid0(VALU_DEP_1)
	v_dual_mov_b32 v97, v5 :: v_dual_mov_b32 v96, v4
	s_wait_kmcnt 0x0
	s_add_nc_u64 s[22:23], s[2:3], 8
	s_mov_b32 s3, 0
.LBB0_2:                                ; =>This Inner Loop Header: Depth=1
	s_load_b64 s[24:25], s[22:23], 0x0
                                        ; implicit-def: $vgpr100_vgpr101
	s_mov_b32 s2, exec_lo
	s_wait_kmcnt 0x0
	v_or_b32_e32 v2, s25, v7
	s_delay_alu instid0(VALU_DEP_1)
	v_cmpx_ne_u64_e32 0, v[1:2]
	s_wait_alu 0xfffe
	s_xor_b32 s26, exec_lo, s2
	s_cbranch_execz .LBB0_4
; %bb.3:                                ;   in Loop: Header=BB0_2 Depth=1
	s_cvt_f32_u32 s2, s24
	s_cvt_f32_u32 s27, s25
	s_sub_nc_u64 s[30:31], 0, s[24:25]
	s_wait_alu 0xfffe
	s_delay_alu instid0(SALU_CYCLE_1) | instskip(SKIP_1) | instid1(SALU_CYCLE_2)
	s_fmamk_f32 s2, s27, 0x4f800000, s2
	s_wait_alu 0xfffe
	v_s_rcp_f32 s2, s2
	s_delay_alu instid0(TRANS32_DEP_1) | instskip(SKIP_1) | instid1(SALU_CYCLE_2)
	s_mul_f32 s2, s2, 0x5f7ffffc
	s_wait_alu 0xfffe
	s_mul_f32 s27, s2, 0x2f800000
	s_wait_alu 0xfffe
	s_delay_alu instid0(SALU_CYCLE_2) | instskip(SKIP_1) | instid1(SALU_CYCLE_2)
	s_trunc_f32 s27, s27
	s_wait_alu 0xfffe
	s_fmamk_f32 s2, s27, 0xcf800000, s2
	s_cvt_u32_f32 s29, s27
	s_wait_alu 0xfffe
	s_delay_alu instid0(SALU_CYCLE_1) | instskip(SKIP_1) | instid1(SALU_CYCLE_2)
	s_cvt_u32_f32 s28, s2
	s_wait_alu 0xfffe
	s_mul_u64 s[34:35], s[30:31], s[28:29]
	s_wait_alu 0xfffe
	s_mul_hi_u32 s37, s28, s35
	s_mul_i32 s36, s28, s35
	s_mul_hi_u32 s2, s28, s34
	s_mul_i32 s33, s29, s34
	s_wait_alu 0xfffe
	s_add_nc_u64 s[36:37], s[2:3], s[36:37]
	s_mul_hi_u32 s27, s29, s34
	s_mul_hi_u32 s38, s29, s35
	s_add_co_u32 s2, s36, s33
	s_wait_alu 0xfffe
	s_add_co_ci_u32 s2, s37, s27
	s_mul_i32 s34, s29, s35
	s_add_co_ci_u32 s35, s38, 0
	s_wait_alu 0xfffe
	s_add_nc_u64 s[34:35], s[2:3], s[34:35]
	s_wait_alu 0xfffe
	v_add_co_u32 v2, s2, s28, s34
	s_delay_alu instid0(VALU_DEP_1) | instskip(SKIP_1) | instid1(VALU_DEP_1)
	s_cmp_lg_u32 s2, 0
	s_add_co_ci_u32 s29, s29, s35
	v_readfirstlane_b32 s28, v2
	s_wait_alu 0xfffe
	s_delay_alu instid0(VALU_DEP_1)
	s_mul_u64 s[30:31], s[30:31], s[28:29]
	s_wait_alu 0xfffe
	s_mul_hi_u32 s35, s28, s31
	s_mul_i32 s34, s28, s31
	s_mul_hi_u32 s2, s28, s30
	s_mul_i32 s33, s29, s30
	s_wait_alu 0xfffe
	s_add_nc_u64 s[34:35], s[2:3], s[34:35]
	s_mul_hi_u32 s27, s29, s30
	s_mul_hi_u32 s28, s29, s31
	s_wait_alu 0xfffe
	s_add_co_u32 s2, s34, s33
	s_add_co_ci_u32 s2, s35, s27
	s_mul_i32 s30, s29, s31
	s_add_co_ci_u32 s31, s28, 0
	s_wait_alu 0xfffe
	s_add_nc_u64 s[30:31], s[2:3], s[30:31]
	s_wait_alu 0xfffe
	v_add_co_u32 v8, s2, v2, s30
	s_delay_alu instid0(VALU_DEP_1) | instskip(SKIP_1) | instid1(VALU_DEP_1)
	s_cmp_lg_u32 s2, 0
	s_add_co_ci_u32 s2, s29, s31
	v_mul_hi_u32 v12, v6, v8
	s_wait_alu 0xfffe
	v_mad_co_u64_u32 v[2:3], null, v6, s2, 0
	v_mad_co_u64_u32 v[8:9], null, v7, v8, 0
	;; [unrolled: 1-line block ×3, first 2 shown]
	s_delay_alu instid0(VALU_DEP_3) | instskip(SKIP_1) | instid1(VALU_DEP_4)
	v_add_co_u32 v2, vcc_lo, v12, v2
	s_wait_alu 0xfffd
	v_add_co_ci_u32_e32 v3, vcc_lo, 0, v3, vcc_lo
	s_delay_alu instid0(VALU_DEP_2) | instskip(SKIP_1) | instid1(VALU_DEP_2)
	v_add_co_u32 v2, vcc_lo, v2, v8
	s_wait_alu 0xfffd
	v_add_co_ci_u32_e32 v2, vcc_lo, v3, v9, vcc_lo
	s_wait_alu 0xfffd
	v_add_co_ci_u32_e32 v3, vcc_lo, 0, v11, vcc_lo
	s_delay_alu instid0(VALU_DEP_2) | instskip(SKIP_1) | instid1(VALU_DEP_2)
	v_add_co_u32 v8, vcc_lo, v2, v10
	s_wait_alu 0xfffd
	v_add_co_ci_u32_e32 v9, vcc_lo, 0, v3, vcc_lo
	s_delay_alu instid0(VALU_DEP_2) | instskip(SKIP_1) | instid1(VALU_DEP_3)
	v_mul_lo_u32 v10, s25, v8
	v_mad_co_u64_u32 v[2:3], null, s24, v8, 0
	v_mul_lo_u32 v11, s24, v9
	s_delay_alu instid0(VALU_DEP_2) | instskip(NEXT) | instid1(VALU_DEP_2)
	v_sub_co_u32 v2, vcc_lo, v6, v2
	v_add3_u32 v3, v3, v11, v10
	s_delay_alu instid0(VALU_DEP_1) | instskip(SKIP_1) | instid1(VALU_DEP_1)
	v_sub_nc_u32_e32 v10, v7, v3
	s_wait_alu 0xfffd
	v_subrev_co_ci_u32_e64 v10, s2, s25, v10, vcc_lo
	v_add_co_u32 v11, s2, v8, 2
	s_wait_alu 0xf1ff
	v_add_co_ci_u32_e64 v12, s2, 0, v9, s2
	v_sub_co_u32 v13, s2, v2, s24
	v_sub_co_ci_u32_e32 v3, vcc_lo, v7, v3, vcc_lo
	s_wait_alu 0xf1ff
	v_subrev_co_ci_u32_e64 v10, s2, 0, v10, s2
	s_delay_alu instid0(VALU_DEP_3) | instskip(NEXT) | instid1(VALU_DEP_3)
	v_cmp_le_u32_e32 vcc_lo, s24, v13
	v_cmp_eq_u32_e64 s2, s25, v3
	s_wait_alu 0xfffd
	v_cndmask_b32_e64 v13, 0, -1, vcc_lo
	v_cmp_le_u32_e32 vcc_lo, s25, v10
	s_wait_alu 0xfffd
	v_cndmask_b32_e64 v14, 0, -1, vcc_lo
	v_cmp_le_u32_e32 vcc_lo, s24, v2
	;; [unrolled: 3-line block ×3, first 2 shown]
	s_wait_alu 0xfffd
	v_cndmask_b32_e64 v15, 0, -1, vcc_lo
	v_cmp_eq_u32_e32 vcc_lo, s25, v10
	s_wait_alu 0xf1ff
	s_delay_alu instid0(VALU_DEP_2)
	v_cndmask_b32_e64 v2, v15, v2, s2
	s_wait_alu 0xfffd
	v_cndmask_b32_e32 v10, v14, v13, vcc_lo
	v_add_co_u32 v13, vcc_lo, v8, 1
	s_wait_alu 0xfffd
	v_add_co_ci_u32_e32 v14, vcc_lo, 0, v9, vcc_lo
	s_delay_alu instid0(VALU_DEP_3) | instskip(SKIP_1) | instid1(VALU_DEP_2)
	v_cmp_ne_u32_e32 vcc_lo, 0, v10
	s_wait_alu 0xfffd
	v_dual_cndmask_b32 v3, v14, v12 :: v_dual_cndmask_b32 v10, v13, v11
	v_cmp_ne_u32_e32 vcc_lo, 0, v2
	s_wait_alu 0xfffd
	s_delay_alu instid0(VALU_DEP_2)
	v_dual_cndmask_b32 v101, v9, v3 :: v_dual_cndmask_b32 v100, v8, v10
.LBB0_4:                                ;   in Loop: Header=BB0_2 Depth=1
	s_wait_alu 0xfffe
	s_and_not1_saveexec_b32 s2, s26
	s_cbranch_execz .LBB0_6
; %bb.5:                                ;   in Loop: Header=BB0_2 Depth=1
	v_cvt_f32_u32_e32 v2, s24
	s_sub_co_i32 s26, 0, s24
	v_mov_b32_e32 v101, v1
	s_delay_alu instid0(VALU_DEP_2) | instskip(NEXT) | instid1(TRANS32_DEP_1)
	v_rcp_iflag_f32_e32 v2, v2
	v_mul_f32_e32 v2, 0x4f7ffffe, v2
	s_delay_alu instid0(VALU_DEP_1) | instskip(SKIP_1) | instid1(VALU_DEP_1)
	v_cvt_u32_f32_e32 v2, v2
	s_wait_alu 0xfffe
	v_mul_lo_u32 v3, s26, v2
	s_delay_alu instid0(VALU_DEP_1) | instskip(NEXT) | instid1(VALU_DEP_1)
	v_mul_hi_u32 v3, v2, v3
	v_add_nc_u32_e32 v2, v2, v3
	s_delay_alu instid0(VALU_DEP_1) | instskip(NEXT) | instid1(VALU_DEP_1)
	v_mul_hi_u32 v2, v6, v2
	v_mul_lo_u32 v3, v2, s24
	v_add_nc_u32_e32 v8, 1, v2
	s_delay_alu instid0(VALU_DEP_2) | instskip(NEXT) | instid1(VALU_DEP_1)
	v_sub_nc_u32_e32 v3, v6, v3
	v_subrev_nc_u32_e32 v9, s24, v3
	v_cmp_le_u32_e32 vcc_lo, s24, v3
	s_wait_alu 0xfffd
	s_delay_alu instid0(VALU_DEP_2) | instskip(NEXT) | instid1(VALU_DEP_1)
	v_dual_cndmask_b32 v3, v3, v9 :: v_dual_cndmask_b32 v2, v2, v8
	v_cmp_le_u32_e32 vcc_lo, s24, v3
	s_delay_alu instid0(VALU_DEP_2) | instskip(SKIP_1) | instid1(VALU_DEP_1)
	v_add_nc_u32_e32 v8, 1, v2
	s_wait_alu 0xfffd
	v_cndmask_b32_e32 v100, v2, v8, vcc_lo
.LBB0_6:                                ;   in Loop: Header=BB0_2 Depth=1
	s_wait_alu 0xfffe
	s_or_b32 exec_lo, exec_lo, s2
	v_mul_lo_u32 v8, v101, s24
	s_delay_alu instid0(VALU_DEP_2)
	v_mul_lo_u32 v9, v100, s25
	s_load_b64 s[26:27], s[18:19], 0x0
	v_mad_co_u64_u32 v[2:3], null, v100, s24, 0
	s_load_b64 s[24:25], s[16:17], 0x0
	s_add_nc_u64 s[20:21], s[20:21], 1
	s_add_nc_u64 s[16:17], s[16:17], 8
	s_wait_alu 0xfffe
	v_cmp_ge_u64_e64 s2, s[20:21], s[10:11]
	s_add_nc_u64 s[18:19], s[18:19], 8
	s_add_nc_u64 s[22:23], s[22:23], 8
	v_add3_u32 v3, v3, v9, v8
	v_sub_co_u32 v2, vcc_lo, v6, v2
	s_wait_alu 0xfffd
	s_delay_alu instid0(VALU_DEP_2) | instskip(SKIP_2) | instid1(VALU_DEP_1)
	v_sub_co_ci_u32_e32 v3, vcc_lo, v7, v3, vcc_lo
	s_and_b32 vcc_lo, exec_lo, s2
	s_wait_kmcnt 0x0
	v_mul_lo_u32 v6, s26, v3
	v_mul_lo_u32 v7, s27, v2
	v_mad_co_u64_u32 v[4:5], null, s26, v2, v[4:5]
	v_mul_lo_u32 v3, s24, v3
	v_mul_lo_u32 v8, s25, v2
	v_mad_co_u64_u32 v[96:97], null, s24, v2, v[96:97]
	s_delay_alu instid0(VALU_DEP_4) | instskip(NEXT) | instid1(VALU_DEP_2)
	v_add3_u32 v5, v7, v5, v6
	v_add3_u32 v97, v8, v97, v3
	s_wait_alu 0xfffe
	s_cbranch_vccnz .LBB0_9
; %bb.7:                                ;   in Loop: Header=BB0_2 Depth=1
	v_dual_mov_b32 v6, v100 :: v_dual_mov_b32 v7, v101
	s_branch .LBB0_2
.LBB0_8:
	v_dual_mov_b32 v97, v5 :: v_dual_mov_b32 v96, v4
	v_dual_mov_b32 v101, v7 :: v_dual_mov_b32 v100, v6
.LBB0_9:
	s_load_b64 s[0:1], s[0:1], 0x28
	v_mul_hi_u32 v1, 0x226b903, v0
	s_lshl_b64 s[2:3], s[10:11], 3
                                        ; implicit-def: $vgpr2_vgpr3
                                        ; implicit-def: $vgpr6_vgpr7
                                        ; implicit-def: $vgpr10_vgpr11
                                        ; implicit-def: $vgpr14_vgpr15
                                        ; implicit-def: $vgpr18_vgpr19
                                        ; implicit-def: $vgpr26_vgpr27
                                        ; implicit-def: $vgpr30_vgpr31
                                        ; implicit-def: $vgpr34_vgpr35
                                        ; implicit-def: $vgpr38_vgpr39
                                        ; implicit-def: $vgpr42_vgpr43
                                        ; implicit-def: $vgpr46_vgpr47
                                        ; implicit-def: $vgpr50_vgpr51
                                        ; implicit-def: $vgpr54_vgpr55
                                        ; implicit-def: $vgpr58_vgpr59
                                        ; implicit-def: $vgpr62_vgpr63
                                        ; implicit-def: $vgpr66_vgpr67
                                        ; implicit-def: $vgpr22_vgpr23
	s_delay_alu instid0(VALU_DEP_1) | instskip(NEXT) | instid1(VALU_DEP_1)
	v_mul_u32_u24_e32 v1, 0x77, v1
	v_sub_nc_u32_e32 v98, v0, v1
	s_wait_kmcnt 0x0
	v_cmp_gt_u64_e32 vcc_lo, s[0:1], v[100:101]
	s_delay_alu instid0(VALU_DEP_2) | instskip(NEXT) | instid1(VALU_DEP_1)
	v_cmp_gt_u32_e64 s0, 0x62, v98
	s_and_b32 s1, vcc_lo, s0
	s_wait_alu 0xfffe
	s_and_saveexec_b32 s10, s1
	s_cbranch_execz .LBB0_11
; %bb.10:
	s_add_nc_u64 s[12:13], s[12:13], s[2:3]
	v_mov_b32_e32 v99, 0
	s_load_b64 s[12:13], s[12:13], 0x0
	s_wait_kmcnt 0x0
	v_mul_lo_u32 v2, s13, v100
	v_mul_lo_u32 v3, s12, v101
	v_mad_co_u64_u32 v[0:1], null, s12, v100, 0
	s_delay_alu instid0(VALU_DEP_1) | instskip(SKIP_1) | instid1(VALU_DEP_2)
	v_add3_u32 v1, v1, v3, v2
	v_lshlrev_b64_e32 v[2:3], 4, v[4:5]
	v_lshlrev_b64_e32 v[0:1], 4, v[0:1]
	s_delay_alu instid0(VALU_DEP_1) | instskip(SKIP_1) | instid1(VALU_DEP_2)
	v_add_co_u32 v4, s1, s4, v0
	s_wait_alu 0xf1ff
	v_add_co_ci_u32_e64 v5, s1, s5, v1, s1
	v_lshlrev_b64_e32 v[0:1], 4, v[98:99]
	s_delay_alu instid0(VALU_DEP_3) | instskip(SKIP_1) | instid1(VALU_DEP_3)
	v_add_co_u32 v2, s1, v4, v2
	s_wait_alu 0xf1ff
	v_add_co_ci_u32_e64 v3, s1, v5, v3, s1
	s_delay_alu instid0(VALU_DEP_2) | instskip(SKIP_1) | instid1(VALU_DEP_2)
	v_add_co_u32 v0, s1, v2, v0
	s_wait_alu 0xf1ff
	v_add_co_ci_u32_e64 v1, s1, v3, v1, s1
	s_clause 0x10
	global_load_b128 v[20:23], v[0:1], off
	global_load_b128 v[64:67], v[0:1], off offset:1568
	global_load_b128 v[60:63], v[0:1], off offset:3136
	global_load_b128 v[56:59], v[0:1], off offset:4704
	global_load_b128 v[52:55], v[0:1], off offset:6272
	global_load_b128 v[48:51], v[0:1], off offset:7840
	global_load_b128 v[44:47], v[0:1], off offset:9408
	global_load_b128 v[40:43], v[0:1], off offset:10976
	global_load_b128 v[36:39], v[0:1], off offset:12544
	global_load_b128 v[32:35], v[0:1], off offset:14112
	global_load_b128 v[28:31], v[0:1], off offset:15680
	global_load_b128 v[24:27], v[0:1], off offset:17248
	global_load_b128 v[16:19], v[0:1], off offset:18816
	global_load_b128 v[12:15], v[0:1], off offset:20384
	global_load_b128 v[8:11], v[0:1], off offset:21952
	global_load_b128 v[4:7], v[0:1], off offset:23520
	global_load_b128 v[0:3], v[0:1], off offset:25088
.LBB0_11:
	s_wait_alu 0xfffe
	s_or_b32 exec_lo, exec_lo, s10
	s_and_saveexec_b32 s1, s0
	s_cbranch_execz .LBB0_13
; %bb.12:
	s_wait_loadcnt 0xf
	v_add_f64_e32 v[68:69], v[64:65], v[20:21]
	s_wait_loadcnt 0x0
	v_add_f64_e32 v[70:71], v[0:1], v[64:65]
	s_mov_b32 s44, 0x910ea3b9
	s_mov_b32 s54, 0xc61f0d01
	;; [unrolled: 1-line block ×9, first 2 shown]
	v_add_f64_e32 v[72:73], v[4:5], v[60:61]
	v_add_f64_e64 v[74:75], v[66:67], -v[2:3]
	s_mov_b32 s49, 0xbfef7484
	s_mov_b32 s46, 0x2b2883cd
	;; [unrolled: 1-line block ×16, first 2 shown]
	s_wait_alu 0xfffe
	s_mov_b32 s10, s4
	s_mov_b32 s34, s22
	;; [unrolled: 1-line block ×6, first 2 shown]
	v_add_f64_e64 v[76:77], v[62:63], -v[6:7]
	s_mov_b32 s19, 0x3fc7851a
	s_mov_b32 s21, 0xbfc7851a
	v_add_f64_e32 v[68:69], v[60:61], v[68:69]
	v_mul_f64_e32 v[102:103], s[44:45], v[70:71]
	v_mul_f64_e32 v[112:113], s[54:55], v[70:71]
	v_mul_f64_e32 v[114:115], s[50:51], v[70:71]
	v_mul_f64_e32 v[108:109], s[58:59], v[70:71]
	v_mul_f64_e32 v[116:117], s[48:49], v[70:71]
	v_mul_f64_e32 v[122:123], s[46:47], v[70:71]
	v_mul_f64_e32 v[126:127], s[56:57], v[70:71]
	v_mul_f64_e32 v[70:71], s[52:53], v[70:71]
	v_add_f64_e32 v[78:79], v[8:9], v[56:57]
	s_mov_b32 s20, s18
	v_mul_f64_e32 v[118:119], s[46:47], v[72:73]
	v_mul_f64_e32 v[124:125], s[44:45], v[72:73]
	;; [unrolled: 1-line block ×4, first 2 shown]
	s_mov_b32 s12, 0x7c9e640b
	s_mov_b32 s36, 0x2a9d6da3
	;; [unrolled: 1-line block ×4, first 2 shown]
	v_mul_f64_e32 v[150:151], s[52:53], v[72:73]
	s_mov_b32 s13, 0xbfeca52d
	s_mov_b32 s25, 0x3feca52d
	;; [unrolled: 1-line block ×5, first 2 shown]
	s_wait_alu 0xfffe
	s_mov_b32 s24, s12
	s_mov_b32 s40, s36
	v_mul_f64_e32 v[166:167], s[58:59], v[72:73]
	v_mul_f64_e32 v[174:175], s[50:51], v[72:73]
	;; [unrolled: 1-line block ×3, first 2 shown]
	s_mov_b32 s31, 0xbfd71e95
	s_mov_b32 s39, 0x3fd71e95
	;; [unrolled: 1-line block ×3, first 2 shown]
	v_add_f64_e64 v[80:81], v[58:59], -v[10:11]
	v_add_f64_e32 v[82:83], v[12:13], v[52:53]
	v_add_f64_e64 v[84:85], v[54:55], -v[14:15]
	v_add_f64_e32 v[86:87], v[16:17], v[48:49]
	;; [unrolled: 2-line block ×3, first 2 shown]
	v_fma_f64 v[158:159], v[74:75], s[10:11], v[102:103]
	v_fma_f64 v[168:169], v[74:75], s[34:35], v[112:113]
	;; [unrolled: 1-line block ×10, first 2 shown]
	s_wait_alu 0xfffe
	v_fma_f64 v[180:181], v[74:75], s[24:25], v[122:123]
	v_fma_f64 v[122:123], v[74:75], s[12:13], v[122:123]
	;; [unrolled: 1-line block ×6, first 2 shown]
	v_mul_f64_e32 v[130:131], s[50:51], v[78:79]
	v_mul_f64_e32 v[132:133], s[52:53], v[78:79]
	;; [unrolled: 1-line block ×8, first 2 shown]
	v_fma_f64 v[186:187], v[76:77], s[24:25], v[118:119]
	v_fma_f64 v[190:191], v[76:77], s[4:5], v[124:125]
	;; [unrolled: 1-line block ×13, first 2 shown]
	v_add_f64_e32 v[68:69], v[52:53], v[68:69]
	v_add_f64_e32 v[158:159], v[20:21], v[158:159]
	;; [unrolled: 1-line block ×7, first 2 shown]
	v_fma_f64 v[174:175], v[76:77], s[28:29], v[174:175]
	v_fma_f64 v[208:209], v[76:77], s[40:41], v[72:73]
	v_add_f64_e32 v[102:103], v[20:21], v[102:103]
	v_fma_f64 v[72:73], v[76:77], s[36:37], v[72:73]
	v_add_f64_e32 v[76:77], v[20:21], v[108:109]
	v_add_f64_e32 v[108:109], v[20:21], v[112:113]
	;; [unrolled: 1-line block ×9, first 2 shown]
	v_mul_f64_e32 v[138:139], s[58:59], v[82:83]
	v_mul_f64_e32 v[140:141], s[44:45], v[82:83]
	;; [unrolled: 1-line block ×6, first 2 shown]
	v_fma_f64 v[194:195], v[80:81], s[28:29], v[130:131]
	v_fma_f64 v[196:197], v[80:81], s[30:31], v[132:133]
	;; [unrolled: 1-line block ×12, first 2 shown]
	v_add_f64_e32 v[68:69], v[48:49], v[68:69]
	v_fma_f64 v[210:211], v[80:81], s[16:17], v[178:179]
	v_fma_f64 v[178:179], v[80:81], s[26:27], v[178:179]
	;; [unrolled: 1-line block ×4, first 2 shown]
	v_mul_f64_e32 v[80:81], s[48:49], v[82:83]
	v_add_f64_e32 v[158:159], v[186:187], v[158:159]
	v_mul_f64_e32 v[82:83], s[50:51], v[82:83]
	v_add_f64_e32 v[168:169], v[190:191], v[168:169]
	v_add_f64_e32 v[172:173], v[192:193], v[172:173]
	v_add_f64_e32 v[164:165], v[188:189], v[164:165]
	v_add_f64_e32 v[176:177], v[202:203], v[176:177]
	v_add_f64_e32 v[116:117], v[150:151], v[116:117]
	v_add_f64_e32 v[102:103], v[118:119], v[102:103]
	v_add_f64_e32 v[76:77], v[120:121], v[76:77]
	v_add_f64_e32 v[108:109], v[124:125], v[108:109]
	v_add_f64_e32 v[112:113], v[128:129], v[112:113]
	v_add_f64_e32 v[114:115], v[204:205], v[114:115]
	v_add_f64_e32 v[120:121], v[166:167], v[122:123]
	v_add_f64_e32 v[122:123], v[206:207], v[180:181]
	v_add_f64_e32 v[72:73], v[72:73], v[182:183]
	v_add_f64_e32 v[124:125], v[174:175], v[126:127]
	v_add_f64_e32 v[20:21], v[208:209], v[20:21]
	v_add_f64_e32 v[90:91], v[24:25], v[44:45]
	v_mul_f64_e32 v[146:147], s[52:53], v[86:87]
	v_mul_f64_e32 v[148:149], s[50:51], v[86:87]
	;; [unrolled: 1-line block ×6, first 2 shown]
	v_fma_f64 v[128:129], v[84:85], s[16:17], v[138:139]
	v_fma_f64 v[166:167], v[84:85], s[10:11], v[140:141]
	;; [unrolled: 1-line block ×8, first 2 shown]
	v_add_f64_e32 v[68:69], v[44:45], v[68:69]
	v_fma_f64 v[142:143], v[84:85], s[24:25], v[142:143]
	v_fma_f64 v[144:145], v[84:85], s[30:31], v[144:145]
	;; [unrolled: 1-line block ×8, first 2 shown]
	v_mul_f64_e32 v[84:85], s[44:45], v[86:87]
	v_mul_f64_e32 v[86:87], s[54:55], v[86:87]
	v_add_f64_e32 v[158:159], v[194:195], v[158:159]
	v_add_f64_e32 v[168:169], v[198:199], v[168:169]
	;; [unrolled: 1-line block ×16, first 2 shown]
	v_add_f64_e64 v[92:93], v[46:47], -v[26:27]
	v_add_f64_e32 v[94:95], v[28:29], v[40:41]
	v_mul_f64_e32 v[156:157], s[48:49], v[90:91]
	v_mul_f64_e32 v[186:187], s[56:57], v[90:91]
	;; [unrolled: 1-line block ×8, first 2 shown]
	v_fma_f64 v[136:137], v[88:89], s[30:31], v[146:147]
	v_add_f64_e32 v[68:69], v[40:41], v[68:69]
	v_fma_f64 v[160:161], v[88:89], s[42:43], v[148:149]
	v_fma_f64 v[170:171], v[88:89], s[20:21], v[152:153]
	;; [unrolled: 1-line block ×15, first 2 shown]
	v_add_f64_e32 v[88:89], v[128:129], v[158:159]
	v_add_f64_e32 v[128:129], v[174:175], v[168:169]
	;; [unrolled: 1-line block ×16, first 2 shown]
	v_add_f64_e64 v[104:105], v[42:43], -v[30:31]
	v_add_f64_e32 v[106:107], v[32:33], v[36:37]
	v_mul_f64_e32 v[192:193], s[56:57], v[94:95]
	v_mul_f64_e32 v[202:203], s[48:49], v[94:95]
	;; [unrolled: 1-line block ×4, first 2 shown]
	v_add_f64_e32 v[68:69], v[36:37], v[68:69]
	v_mul_f64_e32 v[82:83], s[54:55], v[94:95]
	v_mul_f64_e32 v[122:123], s[50:51], v[94:95]
	;; [unrolled: 1-line block ×4, first 2 shown]
	v_fma_f64 v[140:141], v[92:93], s[20:21], v[156:157]
	v_fma_f64 v[142:143], v[92:93], s[36:37], v[186:187]
	;; [unrolled: 1-line block ×16, first 2 shown]
	v_add_f64_e32 v[88:89], v[136:137], v[88:89]
	v_add_f64_e32 v[92:93], v[170:171], v[128:129]
	;; [unrolled: 1-line block ×16, first 2 shown]
	v_add_f64_e64 v[110:111], v[38:39], -v[34:35]
	v_add_f64_e32 v[68:69], v[32:33], v[68:69]
	v_mul_f64_e32 v[198:199], s[54:55], v[106:107]
	v_mul_f64_e32 v[124:125], s[58:59], v[106:107]
	;; [unrolled: 1-line block ×3, first 2 shown]
	v_fma_f64 v[146:147], v[104:105], s[40:41], v[192:193]
	v_fma_f64 v[148:149], v[104:105], s[20:21], v[202:203]
	;; [unrolled: 1-line block ×16, first 2 shown]
	v_mul_f64_e32 v[84:85], s[46:47], v[106:107]
	v_add_f64_e32 v[88:89], v[140:141], v[88:89]
	v_add_f64_e32 v[92:93], v[144:145], v[92:93]
	;; [unrolled: 1-line block ×3, first 2 shown]
	v_mul_f64_e32 v[86:87], s[50:51], v[106:107]
	v_mul_f64_e32 v[120:121], s[44:45], v[106:107]
	v_mul_f64_e32 v[126:127], s[52:53], v[106:107]
	v_mul_f64_e32 v[106:107], s[48:49], v[106:107]
	v_add_f64_e32 v[128:129], v[142:143], v[136:137]
	v_add_f64_e32 v[70:71], v[166:167], v[70:71]
	;; [unrolled: 1-line block ×14, first 2 shown]
	v_fma_f64 v[90:91], v[110:111], s[34:35], v[198:199]
	v_fma_f64 v[130:131], v[110:111], s[26:27], v[124:125]
	;; [unrolled: 1-line block ×6, first 2 shown]
	v_mad_u32_u24 v99, 0x88, v98, 0
	v_fma_f64 v[134:135], v[110:111], s[24:25], v[84:85]
	v_add_f64_e32 v[88:89], v[146:147], v[88:89]
	v_add_f64_e32 v[92:93], v[152:153], v[92:93]
	;; [unrolled: 1-line block ×3, first 2 shown]
	v_fma_f64 v[136:137], v[110:111], s[28:29], v[86:87]
	v_fma_f64 v[86:87], v[110:111], s[42:43], v[86:87]
	;; [unrolled: 1-line block ×9, first 2 shown]
	v_add_f64_e32 v[110:111], v[148:149], v[128:129]
	v_add_f64_e32 v[70:71], v[158:159], v[70:71]
	;; [unrolled: 1-line block ×32, first 2 shown]
	s_delay_alu instid0(VALU_DEP_1) | instskip(NEXT) | instid1(VALU_DEP_1)
	v_add_f64_e32 v[68:69], v[8:9], v[68:69]
	v_add_f64_e32 v[68:69], v[4:5], v[68:69]
	s_delay_alu instid0(VALU_DEP_1)
	v_add_f64_e32 v[68:69], v[0:1], v[68:69]
	ds_store_2addr_b64 v99, v[92:93], v[90:91] offset0:4 offset1:5
	ds_store_2addr_b64 v99, v[94:95], v[88:89] offset0:6 offset1:7
	;; [unrolled: 1-line block ×6, first 2 shown]
	ds_store_2addr_b64 v99, v[68:69], v[72:73] offset1:1
	ds_store_2addr_b64 v99, v[78:79], v[74:75] offset0:2 offset1:3
	ds_store_b64 v99, v[20:21] offset:128
.LBB0_13:
	s_wait_alu 0xfffe
	s_or_b32 exec_lo, exec_lo, s1
	v_lshl_add_u32 v99, v98, 3, 0
	global_wb scope:SCOPE_SE
	s_wait_loadcnt_dscnt 0x0
	s_barrier_signal -1
	s_barrier_wait -1
	global_inv scope:SCOPE_SE
	v_add_nc_u32_e32 v20, 0x1400, v99
	v_add_nc_u32_e32 v21, 0x1c00, v99
	;; [unrolled: 1-line block ×6, first 2 shown]
	ds_load_2addr_b64 v[68:71], v99 offset1:119
	ds_load_2addr_b64 v[72:75], v20 offset0:74 offset1:193
	ds_load_2addr_b64 v[84:87], v21 offset0:56 offset1:175
	ds_load_2addr_b64 v[76:79], v103 offset0:110 offset1:229
	ds_load_2addr_b64 v[88:91], v102 offset0:38 offset1:157
	ds_load_2addr_b64 v[80:83], v105 offset0:92 offset1:211
	ds_load_2addr_b64 v[92:95], v104 offset0:20 offset1:139
	s_add_nc_u64 s[2:3], s[14:15], s[2:3]
	global_wb scope:SCOPE_SE
	s_wait_dscnt 0x0
	s_barrier_signal -1
	s_barrier_wait -1
	global_inv scope:SCOPE_SE
	s_and_saveexec_b32 s33, s0
	s_cbranch_execz .LBB0_15
; %bb.14:
	v_add_f64_e32 v[106:107], v[66:67], v[22:23]
	v_add_f64_e64 v[0:1], v[64:65], -v[0:1]
	v_add_f64_e64 v[4:5], v[60:61], -v[4:5]
	s_mov_b32 s26, 0x5d8e7cdc
	s_mov_b32 s36, 0x2a9d6da3
	;; [unrolled: 1-line block ×13, first 2 shown]
	v_add_f64_e32 v[66:67], v[2:3], v[66:67]
	s_mov_b32 s39, 0xbfc7851a
	v_add_f64_e64 v[8:9], v[56:57], -v[8:9]
	v_add_f64_e64 v[12:13], v[52:53], -v[12:13]
	;; [unrolled: 1-line block ×4, first 2 shown]
	s_mov_b32 s46, 0x7c9e640b
	s_mov_b32 s47, 0xbfeca52d
	v_add_f64_e64 v[24:25], v[44:45], -v[24:25]
	v_add_f64_e32 v[44:45], v[30:31], v[42:43]
	s_mov_b32 s0, 0x370991
	s_mov_b32 s4, 0x75d4884
	;; [unrolled: 1-line block ×12, first 2 shown]
	v_add_f64_e32 v[106:107], v[62:63], v[106:107]
	s_wait_alu 0xfffe
	v_mul_f64_e32 v[36:37], s[26:27], v[0:1]
	v_mul_f64_e32 v[48:49], s[36:37], v[0:1]
	;; [unrolled: 1-line block ×5, first 2 shown]
	s_mov_b32 s31, 0x3feca52d
	s_mov_b32 s43, 0x3fd71e95
	;; [unrolled: 1-line block ×10, first 2 shown]
	v_add_f64_e32 v[62:63], v[6:7], v[62:63]
	v_mul_f64_e32 v[110:111], s[36:37], v[4:5]
	v_mul_f64_e32 v[112:113], s[34:35], v[4:5]
	;; [unrolled: 1-line block ×4, first 2 shown]
	s_wait_alu 0xfffe
	v_mul_f64_e32 v[118:119], s[48:49], v[4:5]
	v_mul_f64_e32 v[120:121], s[30:31], v[4:5]
	s_mov_b32 s10, 0x2b2883cd
	s_mov_b32 s11, 0x3fdc86fa
	v_add_f64_e64 v[28:29], v[40:41], -v[28:29]
	v_add_f64_e32 v[40:41], v[34:35], v[38:39]
	s_mov_b32 s55, 0x3fc7851a
	s_mov_b32 s41, 0x3fe58eea
	s_mov_b32 s54, s38
	s_mov_b32 s40, s36
	v_mul_f64_e32 v[122:123], s[46:47], v[8:9]
	v_mul_f64_e32 v[124:125], s[24:25], v[8:9]
	s_wait_alu 0xfffe
	v_mul_f64_e32 v[126:127], s[54:55], v[8:9]
	v_mul_f64_e32 v[128:129], s[48:49], v[8:9]
	;; [unrolled: 1-line block ×5, first 2 shown]
	v_add_f64_e32 v[106:107], v[58:59], v[106:107]
	v_fma_f64 v[154:155], v[66:67], s[0:1], -v[36:37]
	v_fma_f64 v[156:157], v[66:67], s[4:5], -v[48:49]
	v_fma_f64 v[48:49], v[66:67], s[4:5], v[48:49]
	v_fma_f64 v[158:159], v[66:67], s[12:13], -v[52:53]
	v_fma_f64 v[52:53], v[66:67], s[12:13], v[52:53]
	v_fma_f64 v[160:161], v[66:67], s[14:15], -v[56:57]
	v_fma_f64 v[166:167], v[66:67], s[22:23], -v[108:109]
	v_fma_f64 v[108:109], v[66:67], s[22:23], v[108:109]
	v_fma_f64 v[56:57], v[66:67], s[14:15], v[56:57]
	;; [unrolled: 1-line block ×3, first 2 shown]
	v_add_f64_e32 v[58:59], v[10:11], v[58:59]
	v_mul_f64_e32 v[8:9], s[28:29], v[8:9]
	s_mov_b32 s51, 0x3fe9895b
	s_mov_b32 s50, s24
	v_mul_f64_e32 v[136:137], s[34:35], v[12:13]
	v_mul_f64_e32 v[138:139], s[38:39], v[12:13]
	v_fma_f64 v[176:177], v[62:63], s[4:5], -v[110:111]
	v_fma_f64 v[110:111], v[62:63], s[4:5], v[110:111]
	v_fma_f64 v[178:179], v[62:63], s[12:13], -v[112:113]
	v_fma_f64 v[112:113], v[62:63], s[12:13], v[112:113]
	;; [unrolled: 2-line block ×6, first 2 shown]
	v_mul_f64_e32 v[140:141], s[48:49], v[12:13]
	v_mul_f64_e32 v[142:143], s[42:43], v[12:13]
	v_mul_f64_e32 v[144:145], s[46:47], v[12:13]
	v_mul_f64_e32 v[146:147], s[28:29], v[12:13]
	s_wait_alu 0xfffe
	v_mul_f64_e32 v[148:149], s[50:51], v[12:13]
	v_mul_f64_e32 v[12:13], s[40:41], v[12:13]
	s_mov_b32 s45, 0x3fefdd0d
	s_mov_b32 s44, s34
	v_mul_f64_e32 v[150:151], s[20:21], v[16:17]
	v_add_f64_e32 v[106:107], v[54:55], v[106:107]
	v_add_f64_e32 v[54:55], v[14:15], v[54:55]
	v_mul_f64_e32 v[152:153], s[52:53], v[16:17]
	v_add_f64_e32 v[48:49], v[22:23], v[48:49]
	v_mul_f64_e32 v[170:171], s[38:39], v[16:17]
	v_add_f64_e32 v[52:53], v[22:23], v[52:53]
	s_wait_alu 0xfffe
	v_mul_f64_e32 v[172:173], s[44:45], v[16:17]
	v_mul_f64_e32 v[174:175], s[26:27], v[16:17]
	v_add_f64_e32 v[108:109], v[22:23], v[108:109]
	v_add_f64_e32 v[56:57], v[22:23], v[56:57]
	v_mul_f64_e32 v[192:193], s[28:29], v[24:25]
	v_fma_f64 v[194:195], v[58:59], s[10:11], -v[122:123]
	v_fma_f64 v[122:123], v[58:59], s[10:11], v[122:123]
	v_fma_f64 v[196:197], v[58:59], s[16:17], -v[124:125]
	v_fma_f64 v[124:125], v[58:59], s[16:17], v[124:125]
	;; [unrolled: 2-line block ×8, first 2 shown]
	v_add_f64_e32 v[64:65], v[50:51], v[106:107]
	v_mul_f64_e32 v[106:107], s[28:29], v[0:1]
	v_add_f64_e32 v[50:51], v[18:19], v[50:51]
	v_add_f64_e32 v[48:49], v[112:113], v[48:49]
	;; [unrolled: 1-line block ×4, first 2 shown]
	v_mul_f64_e32 v[64:65], s[24:25], v[0:1]
	v_mul_f64_e32 v[0:1], s[46:47], v[0:1]
	v_fma_f64 v[164:165], v[66:67], s[18:19], -v[106:107]
	v_fma_f64 v[106:107], v[66:67], s[18:19], v[106:107]
	v_add_f64_e32 v[48:49], v[124:125], v[48:49]
	v_add_f64_e32 v[52:53], v[128:129], v[52:53]
	;; [unrolled: 1-line block ×3, first 2 shown]
	v_mul_f64_e32 v[128:129], s[38:39], v[28:29]
	v_add_f64_e32 v[42:43], v[42:43], v[60:61]
	v_mul_f64_e32 v[60:61], s[52:53], v[4:5]
	v_mul_f64_e32 v[4:5], s[42:43], v[4:5]
	v_fma_f64 v[162:163], v[66:67], s[16:17], -v[64:65]
	v_fma_f64 v[64:65], v[66:67], s[16:17], v[64:65]
	v_fma_f64 v[168:169], v[66:67], s[10:11], v[0:1]
	v_fma_f64 v[0:1], v[66:67], s[10:11], -v[0:1]
	v_add_f64_e32 v[106:107], v[22:23], v[106:107]
	v_mul_f64_e32 v[66:67], s[46:47], v[16:17]
	v_add_f64_e32 v[38:39], v[38:39], v[42:43]
	v_fma_f64 v[184:185], v[62:63], s[18:19], -v[60:61]
	v_fma_f64 v[60:61], v[62:63], s[18:19], v[60:61]
	v_fma_f64 v[190:191], v[62:63], s[0:1], -v[4:5]
	v_fma_f64 v[4:5], v[62:63], s[0:1], v[4:5]
	v_add_f64_e32 v[62:63], v[22:23], v[154:155]
	v_add_f64_e32 v[154:155], v[22:23], v[156:157]
	;; [unrolled: 1-line block ×12, first 2 shown]
	v_mul_f64_e32 v[42:43], s[40:41], v[16:17]
	v_mul_f64_e32 v[16:17], s[24:25], v[16:17]
	v_fma_f64 v[120:121], v[54:55], s[12:13], -v[136:137]
	v_fma_f64 v[136:137], v[54:55], s[12:13], v[136:137]
	v_mul_f64_e32 v[36:37], s[24:25], v[24:25]
	v_mul_f64_e32 v[168:169], s[26:27], v[24:25]
	v_add_f64_e32 v[34:35], v[34:35], v[38:39]
	v_mul_f64_e32 v[38:39], s[48:49], v[24:25]
	v_add_f64_e32 v[56:57], v[60:61], v[56:57]
	v_add_f64_e32 v[4:5], v[4:5], v[108:109]
	;; [unrolled: 1-line block ×13, first 2 shown]
	v_fma_f64 v[158:159], v[54:55], s[22:23], -v[138:139]
	v_fma_f64 v[138:139], v[54:55], s[22:23], v[138:139]
	v_fma_f64 v[160:161], v[54:55], s[14:15], -v[140:141]
	v_fma_f64 v[140:141], v[54:55], s[14:15], v[140:141]
	v_fma_f64 v[162:163], v[54:55], s[0:1], -v[142:143]
	v_fma_f64 v[142:143], v[54:55], s[0:1], v[142:143]
	v_fma_f64 v[164:165], v[54:55], s[10:11], -v[144:145]
	v_fma_f64 v[144:145], v[54:55], s[10:11], v[144:145]
	v_fma_f64 v[166:167], v[54:55], s[18:19], -v[146:147]
	v_fma_f64 v[146:147], v[54:55], s[18:19], v[146:147]
	v_fma_f64 v[176:177], v[54:55], s[16:17], -v[148:149]
	v_fma_f64 v[148:149], v[54:55], s[16:17], v[148:149]
	v_fma_f64 v[178:179], v[54:55], s[4:5], -v[12:13]
	v_fma_f64 v[12:13], v[54:55], s[4:5], v[12:13]
	v_mul_f64_e32 v[108:109], s[36:37], v[24:25]
	v_mul_f64_e32 v[110:111], s[38:39], v[24:25]
	v_fma_f64 v[180:181], v[50:51], s[12:13], -v[172:173]
	v_fma_f64 v[172:173], v[50:51], s[12:13], v[172:173]
	v_fma_f64 v[182:183], v[50:51], s[0:1], -v[174:175]
	v_fma_f64 v[174:175], v[50:51], s[0:1], v[174:175]
	;; [unrolled: 2-line block ×3, first 2 shown]
	v_add_f64_e32 v[30:31], v[30:31], v[34:35]
	v_mul_f64_e32 v[34:35], s[44:45], v[24:25]
	v_add_f64_e32 v[56:57], v[130:131], v[56:57]
	v_mul_f64_e32 v[24:25], s[30:31], v[24:25]
	v_add_f64_e32 v[4:5], v[8:9], v[4:5]
	v_add_f64_e32 v[54:55], v[194:195], v[58:59]
	;; [unrolled: 1-line block ×13, first 2 shown]
	v_fma_f64 v[130:131], v[50:51], s[14:15], -v[150:151]
	v_fma_f64 v[132:133], v[50:51], s[14:15], v[150:151]
	v_fma_f64 v[134:135], v[50:51], s[18:19], -v[152:153]
	v_fma_f64 v[150:151], v[50:51], s[18:19], v[152:153]
	;; [unrolled: 2-line block ×5, first 2 shown]
	v_add_f64_e32 v[48:49], v[138:139], v[48:49]
	v_add_f64_e32 v[52:53], v[142:143], v[52:53]
	v_mul_f64_e32 v[114:115], s[28:29], v[28:29]
	v_mul_f64_e32 v[106:107], s[34:35], v[28:29]
	;; [unrolled: 1-line block ×4, first 2 shown]
	v_fma_f64 v[138:139], v[46:47], s[14:15], -v[38:39]
	v_fma_f64 v[38:39], v[46:47], s[14:15], v[38:39]
	v_fma_f64 v[142:143], v[46:47], s[0:1], v[168:169]
	v_add_f64_e32 v[26:27], v[26:27], v[30:31]
	v_mul_f64_e32 v[30:31], s[30:31], v[28:29]
	v_add_f64_e32 v[4:5], v[12:13], v[4:5]
	v_add_f64_e32 v[50:51], v[120:121], v[54:55]
	;; [unrolled: 1-line block ×14, first 2 shown]
	v_fma_f64 v[136:137], v[46:47], s[16:17], -v[36:37]
	v_fma_f64 v[36:37], v[46:47], s[16:17], v[36:37]
	v_fma_f64 v[140:141], v[46:47], s[0:1], -v[168:169]
	v_fma_f64 v[144:145], v[46:47], s[18:19], -v[192:193]
	v_fma_f64 v[146:147], v[46:47], s[18:19], v[192:193]
	v_fma_f64 v[148:149], v[46:47], s[12:13], -v[34:35]
	v_fma_f64 v[34:35], v[46:47], s[12:13], v[34:35]
	;; [unrolled: 2-line block ×5, first 2 shown]
	v_add_f64_e32 v[48:49], v[150:151], v[48:49]
	v_add_f64_e32 v[52:53], v[66:67], v[52:53]
	v_mul_f64_e32 v[120:121], s[42:43], v[32:33]
	v_fma_f64 v[150:151], v[44:45], s[0:1], -v[126:127]
	v_fma_f64 v[126:127], v[44:45], s[0:1], v[126:127]
	v_mul_f64_e32 v[60:61], s[38:39], v[32:33]
	v_mul_f64_e32 v[124:125], s[28:29], v[32:33]
	v_add_f64_e32 v[18:19], v[18:19], v[26:27]
	v_mul_f64_e32 v[26:27], s[40:41], v[28:29]
	v_mul_f64_e32 v[28:29], s[20:21], v[28:29]
	v_add_f64_e32 v[4:5], v[16:17], v[4:5]
	v_add_f64_e32 v[46:47], v[130:131], v[50:51]
	v_add_f64_e32 v[50:51], v[134:135], v[54:55]
	v_add_f64_e32 v[54:55], v[154:155], v[58:59]
	v_add_f64_e32 v[58:59], v[156:157], v[62:63]
	v_add_f64_e32 v[62:63], v[180:181], v[112:113]
	v_add_f64_e32 v[64:65], v[172:173], v[64:65]
	v_add_f64_e32 v[66:67], v[182:183], v[116:117]
	v_add_f64_e32 v[112:113], v[184:185], v[118:119]
	v_add_f64_e32 v[8:9], v[174:175], v[8:9]
	v_add_f64_e32 v[12:13], v[170:171], v[12:13]
	v_add_f64_e32 v[16:17], v[42:43], v[56:57]
	v_add_f64_e32 v[0:1], v[152:153], v[0:1]
	v_mul_f64_e32 v[42:43], s[24:25], v[32:33]
	v_fma_f64 v[118:119], v[44:45], s[18:19], -v[114:115]
	v_fma_f64 v[114:115], v[44:45], s[18:19], v[114:115]
	v_fma_f64 v[130:131], v[44:45], s[10:11], -v[30:31]
	v_fma_f64 v[30:31], v[44:45], s[10:11], v[30:31]
	;; [unrolled: 2-line block ×4, first 2 shown]
	v_mul_f64_e32 v[56:57], s[30:31], v[32:33]
	v_mul_f64_e32 v[116:117], s[20:21], v[32:33]
	v_add_f64_e32 v[38:39], v[38:39], v[48:49]
	v_add_f64_e32 v[14:15], v[14:15], v[18:19]
	;; [unrolled: 1-line block ×3, first 2 shown]
	v_mul_f64_e32 v[22:23], s[40:41], v[32:33]
	v_fma_f64 v[132:133], v[44:45], s[12:13], -v[106:107]
	v_fma_f64 v[106:107], v[44:45], s[12:13], v[106:107]
	v_fma_f64 v[154:155], v[44:45], s[4:5], -v[26:27]
	v_fma_f64 v[26:27], v[44:45], s[4:5], v[26:27]
	;; [unrolled: 2-line block ×3, first 2 shown]
	v_add_f64_e32 v[44:45], v[136:137], v[46:47]
	v_add_f64_e32 v[46:47], v[138:139], v[50:51]
	;; [unrolled: 1-line block ×5, first 2 shown]
	v_mul_f64_e32 v[32:33], s[44:45], v[32:33]
	v_add_f64_e32 v[54:55], v[158:159], v[62:63]
	v_add_f64_e32 v[62:63], v[160:161], v[66:67]
	;; [unrolled: 1-line block ×9, first 2 shown]
	v_fma_f64 v[110:111], v[40:41], s[16:17], -v[42:43]
	v_fma_f64 v[24:25], v[40:41], s[22:23], v[60:61]
	v_fma_f64 v[34:35], v[40:41], s[0:1], -v[120:121]
	v_fma_f64 v[66:67], v[40:41], s[18:19], v[124:125]
	v_fma_f64 v[42:43], v[40:41], s[16:17], v[42:43]
	v_fma_f64 v[112:113], v[40:41], s[10:11], -v[56:57]
	v_fma_f64 v[56:57], v[40:41], s[10:11], v[56:57]
	v_add_f64_e32 v[30:31], v[30:31], v[38:39]
	v_add_f64_e32 v[10:11], v[10:11], v[14:15]
	v_add_f64_e32 v[14:15], v[36:37], v[18:19]
	v_fma_f64 v[36:37], v[40:41], s[0:1], v[120:121]
	v_fma_f64 v[108:109], v[40:41], s[4:5], -v[22:23]
	v_fma_f64 v[18:19], v[40:41], s[22:23], -v[60:61]
	;; [unrolled: 1-line block ×3, first 2 shown]
	v_fma_f64 v[22:23], v[40:41], s[4:5], v[22:23]
	v_fma_f64 v[120:121], v[40:41], s[14:15], -v[116:117]
	v_fma_f64 v[116:117], v[40:41], s[14:15], v[116:117]
	v_add_f64_e32 v[38:39], v[134:135], v[48:49]
	v_add_f64_e32 v[48:49], v[150:151], v[52:53]
	v_fma_f64 v[124:125], v[40:41], s[12:13], -v[32:33]
	v_fma_f64 v[32:33], v[40:41], s[12:13], v[32:33]
	v_add_f64_e32 v[40:41], v[118:119], v[44:45]
	v_add_f64_e32 v[44:45], v[130:131], v[46:47]
	;; [unrolled: 1-line block ×31, first 2 shown]
	v_lshl_add_u32 v10, v98, 7, v99
	ds_store_2addr_b64 v10, v[28:29], v[30:31] offset0:4 offset1:5
	ds_store_2addr_b64 v10, v[34:35], v[38:39] offset0:6 offset1:7
	;; [unrolled: 1-line block ×7, first 2 shown]
	ds_store_2addr_b64 v10, v[2:3], v[14:15] offset1:1
	ds_store_b64 v10, v[6:7] offset:128
.LBB0_15:
	s_or_b32 exec_lo, exec_lo, s33
	v_and_b32_e32 v0, 0xff, v98
	v_add_nc_u32_e32 v28, 0x77, v98
	v_add_nc_u32_e32 v8, 0xee, v98
	;; [unrolled: 1-line block ×4, first 2 shown]
	v_mul_lo_u16 v61, 0xf1, v0
	v_and_b32_e32 v1, 0xff, v28
	v_add_nc_u32_e32 v11, 0x253, v98
	v_add_nc_u32_e32 v12, 0x2ca, v98
	v_and_b32_e32 v0, 0xffff, v8
	v_lshrrev_b16 v63, 12, v61
	v_mul_lo_u16 v62, 0xf1, v1
	v_and_b32_e32 v1, 0xffff, v9
	v_and_b32_e32 v4, 0xffff, v10
	;; [unrolled: 1-line block ×3, first 2 shown]
	v_mul_lo_u16 v2, v63, 17
	v_and_b32_e32 v6, 0xffff, v12
	v_mul_u32_u24_e32 v0, 0xf0f1, v0
	v_mul_u32_u24_e32 v1, 0xf0f1, v1
	;; [unrolled: 1-line block ×3, first 2 shown]
	v_sub_nc_u16 v2, v98, v2
	v_lshrrev_b16 v64, 12, v62
	v_mul_u32_u24_e32 v13, 0xf0f1, v6
	v_lshrrev_b32_e32 v67, 20, v0
	v_lshrrev_b32_e32 v106, 20, v1
	v_and_b32_e32 v65, 0xff, v2
	v_mul_u32_u24_e32 v2, 0xf0f1, v5
	v_lshrrev_b32_e32 v107, 20, v4
	v_mul_lo_u16 v3, v64, 17
	v_lshrrev_b32_e32 v109, 20, v13
	v_mul_lo_u16 v13, v67, 17
	;; [unrolled: 2-line block ×3, first 2 shown]
	v_mul_lo_u16 v15, v107, 17
	v_sub_nc_u16 v3, v28, v3
	v_mul_lo_u16 v17, v109, 17
	v_mul_lo_u16 v16, v108, 17
	v_sub_nc_u16 v8, v8, v13
	v_sub_nc_u16 v9, v9, v14
	;; [unrolled: 1-line block ×3, first 2 shown]
	v_and_b32_e32 v66, 0xff, v3
	v_sub_nc_u16 v11, v11, v16
	v_sub_nc_u16 v12, v12, v17
	v_and_b32_e32 v110, 0xffff, v8
	v_and_b32_e32 v111, 0xffff, v9
	;; [unrolled: 1-line block ×3, first 2 shown]
	v_lshlrev_b32_e32 v0, 4, v65
	v_and_b32_e32 v113, 0xffff, v11
	v_lshlrev_b32_e32 v5, 4, v66
	v_and_b32_e32 v114, 0xffff, v12
	v_lshlrev_b32_e32 v8, 4, v110
	v_lshlrev_b32_e32 v12, 4, v111
	;; [unrolled: 1-line block ×3, first 2 shown]
	s_load_b64 s[0:1], s[2:3], 0x0
	global_wb scope:SCOPE_SE
	s_wait_dscnt 0x0
	s_wait_kmcnt 0x0
	s_barrier_signal -1
	s_barrier_wait -1
	global_inv scope:SCOPE_SE
	s_clause 0x1
	global_load_b128 v[0:3], v0, s[8:9]
	global_load_b128 v[4:7], v5, s[8:9]
	v_lshlrev_b32_e32 v22, 4, v113
	v_lshlrev_b32_e32 v26, 4, v114
	s_clause 0x4
	global_load_b128 v[8:11], v8, s[8:9]
	global_load_b128 v[12:15], v12, s[8:9]
	;; [unrolled: 1-line block ×5, first 2 shown]
	ds_load_2addr_b64 v[33:36], v20 offset0:74 offset1:193
	ds_load_2addr_b64 v[37:40], v21 offset0:56 offset1:175
	;; [unrolled: 1-line block ×4, first 2 shown]
	v_lshlrev_b32_e32 v65, 3, v65
	s_mov_b32 s20, 0x37e14327
	s_mov_b32 s10, 0x36b3c0b5
	s_mov_b32 s22, 0xe976ee23
	s_mov_b32 s21, 0x3fe948f6
	s_mov_b32 s11, 0x3fac98ee
	s_mov_b32 s23, 0x3fe11646
	s_mov_b32 s2, 0x429ad128
	s_mov_b32 s3, 0xbfebfeb5
	s_mov_b32 s4, 0xaaaaaaaa
	s_mov_b32 s12, 0x5476071b
	s_mov_b32 s16, 0xb247c609
	s_mov_b32 s5, 0xbff2aaaa
	s_mov_b32 s13, 0x3fe77f67
	s_mov_b32 s17, 0xbfd5d0dc
	s_mov_b32 s15, 0xbfe77f67
	s_mov_b32 s19, 0x3fd5d0dc
	s_wait_alu 0xfffe
	s_mov_b32 s14, s12
	s_mov_b32 s18, s16
	;; [unrolled: 1-line block ×4, first 2 shown]
	s_wait_loadcnt_dscnt 0x603
	v_mul_f64_e32 v[26:27], v[35:36], v[2:3]
	s_wait_loadcnt_dscnt 0x301
	v_mul_f64_e32 v[53:54], v[41:42], v[14:15]
	v_mul_f64_e32 v[2:3], v[74:75], v[2:3]
	;; [unrolled: 1-line block ×3, first 2 shown]
	s_wait_loadcnt 0x2
	v_mul_f64_e32 v[55:56], v[43:44], v[18:19]
	v_mul_f64_e32 v[6:7], v[84:85], v[6:7]
	;; [unrolled: 1-line block ×5, first 2 shown]
	s_wait_loadcnt_dscnt 0x0
	v_mul_f64_e32 v[59:60], v[47:48], v[31:32]
	v_mul_f64_e32 v[18:19], v[90:91], v[18:19]
	;; [unrolled: 1-line block ×5, first 2 shown]
	v_fma_f64 v[26:27], v[74:75], v[0:1], v[26:27]
	v_fma_f64 v[53:54], v[88:89], v[12:13], v[53:54]
	v_fma_f64 v[2:3], v[35:36], v[0:1], -v[2:3]
	v_fma_f64 v[49:50], v[84:85], v[4:5], v[49:50]
	v_fma_f64 v[55:56], v[90:91], v[16:17], v[55:56]
	v_fma_f64 v[35:36], v[37:38], v[4:5], -v[6:7]
	v_fma_f64 v[51:52], v[86:87], v[8:9], v[51:52]
	v_fma_f64 v[37:38], v[39:40], v[8:9], -v[10:11]
	v_fma_f64 v[39:40], v[41:42], v[12:13], -v[14:15]
	v_fma_f64 v[59:60], v[94:95], v[29:30], v[59:60]
	v_fma_f64 v[16:17], v[43:44], v[16:17], -v[18:19]
	v_fma_f64 v[57:58], v[92:93], v[22:23], v[57:58]
	v_fma_f64 v[18:19], v[45:46], v[22:23], -v[24:25]
	v_fma_f64 v[22:23], v[47:48], v[29:30], -v[31:32]
	ds_load_2addr_b64 v[4:7], v99 offset1:119
	ds_load_2addr_b64 v[8:11], v103 offset0:110 offset1:229
	ds_load_2addr_b64 v[12:15], v105 offset0:92 offset1:211
	v_and_b32_e32 v47, 0xffff, v63
	v_lshrrev_b16 v0, 13, v61
	v_lshrrev_b16 v1, 13, v62
	v_mul_u32_u24_e32 v84, 0x110, v67
	v_mul_u32_u24_e32 v85, 0x110, v106
	;; [unrolled: 1-line block ×5, first 2 shown]
	v_lshlrev_b32_e32 v88, 3, v113
	v_lshlrev_b32_e32 v89, 3, v114
	global_wb scope:SCOPE_SE
	s_wait_dscnt 0x0
	s_barrier_signal -1
	s_barrier_wait -1
	global_inv scope:SCOPE_SE
	v_add_f64_e64 v[24:25], v[68:69], -v[26:27]
	v_add_f64_e64 v[31:32], v[78:79], -v[53:54]
	;; [unrolled: 1-line block ×14, first 2 shown]
	v_mul_lo_u16 v57, v0, 34
	v_mul_lo_u16 v16, v1, 34
	v_and_b32_e32 v3, 0xffff, v64
	v_and_b32_e32 v0, 0xffff, v0
	v_and_b32_e32 v1, 0xffff, v1
	v_sub_nc_u16 v2, v98, v57
	v_sub_nc_u16 v64, v28, v16
	s_delay_alu instid0(VALU_DEP_4) | instskip(NEXT) | instid1(VALU_DEP_4)
	v_mul_u32_u24_e32 v0, 0x770, v0
	v_mul_u32_u24_e32 v1, 0x770, v1
	s_delay_alu instid0(VALU_DEP_4) | instskip(NEXT) | instid1(VALU_DEP_1)
	v_and_b32_e32 v2, 0xff, v2
	v_mul_u32_u24_e32 v67, 6, v2
	v_lshlrev_b32_e32 v2, 3, v2
	s_delay_alu instid0(VALU_DEP_2)
	v_lshlrev_b32_e32 v90, 4, v67
	v_fma_f64 v[16:17], v[68:69], 2.0, -v[24:25]
	v_fma_f64 v[35:36], v[78:79], 2.0, -v[31:32]
	v_mul_u32_u24_e32 v78, 0x110, v3
	v_and_b32_e32 v3, 0xff, v64
	v_add3_u32 v79, 0, v63, v65
	v_fma_f64 v[63:64], v[4:5], 2.0, -v[47:48]
	v_fma_f64 v[18:19], v[70:71], 2.0, -v[26:27]
	;; [unrolled: 1-line block ×3, first 2 shown]
	v_lshlrev_b32_e32 v80, 3, v66
	v_fma_f64 v[65:66], v[6:7], 2.0, -v[49:50]
	v_fma_f64 v[22:23], v[76:77], 2.0, -v[29:30]
	;; [unrolled: 1-line block ×9, first 2 shown]
	v_lshlrev_b32_e32 v81, 3, v110
	v_lshlrev_b32_e32 v82, 3, v111
	;; [unrolled: 1-line block ×3, first 2 shown]
	v_mul_u32_u24_e32 v77, 0x110, v109
	v_add3_u32 v78, 0, v78, v80
	v_add3_u32 v80, 0, v84, v81
	;; [unrolled: 1-line block ×4, first 2 shown]
	v_mul_u32_u24_e32 v91, 6, v3
	v_add3_u32 v83, 0, v87, v88
	v_add3_u32 v77, 0, v77, v89
	ds_store_2addr_b64 v79, v[16:17], v[24:25] offset1:17
	ds_store_2addr_b64 v78, v[18:19], v[26:27] offset1:17
	;; [unrolled: 1-line block ×7, first 2 shown]
	global_wb scope:SCOPE_SE
	s_wait_dscnt 0x0
	s_barrier_signal -1
	s_barrier_wait -1
	global_inv scope:SCOPE_SE
	ds_load_2addr_b64 v[4:7], v99 offset1:119
	ds_load_2addr_b64 v[8:11], v103 offset0:110 offset1:229
	ds_load_2addr_b64 v[12:15], v105 offset0:92 offset1:211
	;; [unrolled: 1-line block ×6, first 2 shown]
	global_wb scope:SCOPE_SE
	s_wait_dscnt 0x0
	s_barrier_signal -1
	s_barrier_wait -1
	global_inv scope:SCOPE_SE
	ds_store_2addr_b64 v79, v[63:64], v[47:48] offset1:17
	ds_store_2addr_b64 v78, v[65:66], v[49:50] offset1:17
	;; [unrolled: 1-line block ×7, first 2 shown]
	global_wb scope:SCOPE_SE
	s_wait_dscnt 0x0
	s_barrier_signal -1
	s_barrier_wait -1
	global_inv scope:SCOPE_SE
	s_clause 0x1
	global_load_b128 v[37:40], v90, s[8:9] offset:288
	global_load_b128 v[41:44], v90, s[8:9] offset:272
	v_lshlrev_b32_e32 v26, 4, v91
	s_clause 0x9
	global_load_b128 v[45:48], v90, s[8:9] offset:352
	global_load_b128 v[49:52], v90, s[8:9] offset:336
	;; [unrolled: 1-line block ×10, first 2 shown]
	ds_load_2addr_b64 v[85:88], v103 offset0:110 offset1:229
	ds_load_2addr_b64 v[89:92], v105 offset0:92 offset1:211
	;; [unrolled: 1-line block ×6, first 2 shown]
	v_lshlrev_b32_e32 v3, 3, v3
	s_wait_loadcnt_dscnt 0x903
	v_mul_f64_e32 v[122:123], v[106:107], v[47:48]
	s_wait_loadcnt_dscnt 0x802
	v_mul_f64_e32 v[124:125], v[110:111], v[51:52]
	s_wait_loadcnt 0x7
	v_mul_f64_e32 v[126:127], v[87:88], v[55:56]
	s_wait_loadcnt 0x6
	v_mul_f64_e32 v[128:129], v[91:92], v[59:60]
	v_mul_f64_e32 v[93:94], v[89:90], v[39:40]
	;; [unrolled: 1-line block ×3, first 2 shown]
	s_wait_loadcnt 0x5
	v_mul_f64_e32 v[130:131], v[108:109], v[63:64]
	s_wait_loadcnt 0x4
	v_mul_f64_e32 v[132:133], v[112:113], v[67:68]
	v_mul_f64_e32 v[43:44], v[8:9], v[43:44]
	v_mul_f64_e32 v[39:40], v[12:13], v[39:40]
	v_mul_f64_e32 v[47:48], v[33:34], v[47:48]
	v_mul_f64_e32 v[51:52], v[29:30], v[51:52]
	v_mul_f64_e32 v[55:56], v[10:11], v[55:56]
	v_mul_f64_e32 v[59:60], v[14:15], v[59:60]
	v_mul_f64_e32 v[63:64], v[35:36], v[63:64]
	v_mul_f64_e32 v[67:68], v[31:32], v[67:68]
	s_wait_loadcnt_dscnt 0x301
	v_mul_f64_e32 v[134:135], v[114:115], v[71:72]
	v_mul_f64_e32 v[71:72], v[16:17], v[71:72]
	s_wait_loadcnt_dscnt 0x200
	v_mul_f64_e32 v[136:137], v[118:119], v[75:76]
	v_mul_f64_e32 v[75:76], v[22:23], v[75:76]
	s_wait_loadcnt 0x1
	v_mul_f64_e32 v[138:139], v[116:117], v[79:80]
	v_mul_f64_e32 v[79:80], v[18:19], v[79:80]
	v_fma_f64 v[29:30], v[29:30], v[49:50], v[124:125]
	v_fma_f64 v[10:11], v[10:11], v[53:54], v[126:127]
	;; [unrolled: 1-line block ×6, first 2 shown]
	s_wait_loadcnt 0x0
	v_mul_f64_e32 v[33:34], v[120:121], v[83:84]
	v_mul_f64_e32 v[83:84], v[24:25], v[83:84]
	v_fma_f64 v[35:36], v[35:36], v[61:62], v[130:131]
	v_fma_f64 v[31:32], v[31:32], v[65:66], v[132:133]
	v_fma_f64 v[41:42], v[85:86], v[41:42], -v[43:44]
	v_fma_f64 v[37:38], v[89:90], v[37:38], -v[39:40]
	;; [unrolled: 1-line block ×8, first 2 shown]
	v_fma_f64 v[16:17], v[16:17], v[69:70], v[134:135]
	v_fma_f64 v[22:23], v[22:23], v[73:74], v[136:137]
	v_fma_f64 v[53:54], v[114:115], v[69:70], -v[71:72]
	v_fma_f64 v[55:56], v[118:119], v[73:74], -v[75:76]
	v_fma_f64 v[18:19], v[18:19], v[77:78], v[138:139]
	v_fma_f64 v[61:62], v[116:117], v[77:78], -v[79:80]
	v_add_f64_e32 v[59:60], v[12:13], v[29:30]
	v_add_f64_e64 v[12:13], v[12:13], -v[29:30]
	v_add_f64_e32 v[57:58], v[8:9], v[26:27]
	v_fma_f64 v[24:25], v[24:25], v[81:82], v[33:34]
	v_fma_f64 v[33:34], v[120:121], v[81:82], -v[83:84]
	v_add_f64_e32 v[63:64], v[10:11], v[35:36]
	v_add_f64_e32 v[65:66], v[14:15], v[31:32]
	v_add_f64_e64 v[14:15], v[14:15], -v[31:32]
	v_add_f64_e32 v[67:68], v[41:42], v[39:40]
	v_add_f64_e32 v[69:70], v[37:38], v[43:44]
	v_add_f64_e64 v[37:38], v[37:38], -v[43:44]
	v_add_f64_e64 v[39:40], v[41:42], -v[39:40]
	v_add_f64_e32 v[73:74], v[45:46], v[49:50]
	v_add_f64_e32 v[75:76], v[47:48], v[51:52]
	v_add_f64_e64 v[47:48], v[47:48], -v[51:52]
	v_add_f64_e32 v[71:72], v[16:17], v[22:23]
	v_add_f64_e64 v[45:46], v[45:46], -v[49:50]
	v_add_f64_e64 v[43:44], v[55:56], -v[53:54]
	v_add_f64_e32 v[53:54], v[53:54], v[55:56]
	v_add_f64_e64 v[16:17], v[22:23], -v[16:17]
	v_add_f64_e64 v[22:23], v[8:9], -v[26:27]
	v_add_f64_e32 v[41:42], v[59:60], v[57:58]
	v_add_f64_e32 v[51:52], v[18:19], v[24:25]
	v_add_f64_e64 v[77:78], v[33:34], -v[61:62]
	v_add_f64_e32 v[8:9], v[61:62], v[33:34]
	v_add_f64_e32 v[49:50], v[65:66], v[63:64]
	v_add_f64_e64 v[18:19], v[24:25], -v[18:19]
	v_add_f64_e64 v[24:25], v[10:11], -v[35:36]
	v_add_f64_e32 v[26:27], v[69:70], v[67:68]
	v_add_f64_e64 v[35:36], v[37:38], -v[39:40]
	v_add_f64_e32 v[29:30], v[75:76], v[73:74]
	v_add_f64_e64 v[10:11], v[57:58], -v[71:72]
	v_add_f64_e64 v[31:32], v[71:72], -v[59:60]
	;; [unrolled: 1-line block ×6, first 2 shown]
	v_add_f64_e32 v[37:38], v[43:44], v[37:38]
	v_add_f64_e64 v[81:82], v[16:17], -v[12:13]
	v_add_f64_e64 v[83:84], v[12:13], -v[22:23]
	v_add_f64_e64 v[43:44], v[39:40], -v[43:44]
	v_add_f64_e64 v[67:68], v[69:70], -v[67:68]
	v_add_f64_e32 v[12:13], v[16:17], v[12:13]
	v_add_f64_e64 v[16:17], v[22:23], -v[16:17]
	v_add_f64_e64 v[69:70], v[75:76], -v[73:74]
	v_add_f64_e32 v[41:42], v[71:72], v[41:42]
	v_add_f64_e64 v[55:56], v[63:64], -v[51:52]
	v_add_f64_e64 v[61:62], v[77:78], -v[47:48]
	;; [unrolled: 1-line block ×3, first 2 shown]
	v_add_f64_e32 v[49:50], v[51:52], v[49:50]
	v_add_f64_e64 v[51:52], v[51:52], -v[65:66]
	v_add_f64_e64 v[85:86], v[73:74], -v[8:9]
	v_add_f64_e32 v[47:48], v[77:78], v[47:48]
	v_add_f64_e32 v[26:27], v[53:54], v[26:27]
	v_add_f64_e64 v[87:88], v[18:19], -v[14:15]
	v_add_f64_e64 v[89:90], v[14:15], -v[24:25]
	;; [unrolled: 1-line block ×3, first 2 shown]
	v_add_f64_e32 v[29:30], v[8:9], v[29:30]
	v_mul_f64_e32 v[106:107], s[2:3], v[35:36]
	v_mul_f64_e32 v[91:92], s[20:21], v[10:11]
	;; [unrolled: 1-line block ×4, first 2 shown]
	v_add_f64_e64 v[77:78], v[45:46], -v[77:78]
	ds_load_2addr_b64 v[8:11], v99 offset1:119
	v_add_f64_e64 v[63:64], v[65:66], -v[63:64]
	v_add_f64_e32 v[14:15], v[18:19], v[14:15]
	v_mul_f64_e32 v[59:60], s[20:21], v[59:60]
	v_mul_f64_e32 v[73:74], s[10:11], v[79:80]
	;; [unrolled: 1-line block ×3, first 2 shown]
	v_add_f64_e32 v[37:38], v[37:38], v[39:40]
	v_mul_f64_e32 v[39:40], s[2:3], v[83:84]
	v_add_f64_e64 v[18:19], v[24:25], -v[18:19]
	v_add_f64_e32 v[12:13], v[12:13], v[22:23]
	global_wb scope:SCOPE_SE
	s_wait_dscnt 0x0
	s_barrier_signal -1
	s_barrier_wait -1
	global_inv scope:SCOPE_SE
	v_add_f64_e32 v[4:5], v[4:5], v[41:42]
	v_mul_f64_e32 v[55:56], s[20:21], v[55:56]
	v_mul_f64_e32 v[61:62], s[22:23], v[61:62]
	;; [unrolled: 1-line block ×3, first 2 shown]
	v_add_f64_e32 v[6:7], v[6:7], v[49:50]
	v_mul_f64_e32 v[65:66], s[10:11], v[51:52]
	v_add_f64_e32 v[81:82], v[8:9], v[26:27]
	v_add_f64_e32 v[8:9], v[47:48], v[45:46]
	v_mul_f64_e32 v[45:46], s[20:21], v[85:86]
	v_mul_f64_e32 v[47:48], s[22:23], v[87:88]
	;; [unrolled: 1-line block ×3, first 2 shown]
	v_add_f64_e32 v[110:111], v[10:11], v[29:30]
	v_mul_f64_e32 v[85:86], s[10:11], v[53:54]
	v_fma_f64 v[10:11], v[31:32], s[10:11], v[91:92]
	v_fma_f64 v[31:32], v[57:58], s[12:13], -v[93:94]
	v_fma_f64 v[93:94], v[43:44], s[16:17], v[33:34]
	v_fma_f64 v[33:34], v[35:36], s[2:3], -v[33:34]
	s_wait_alu 0xfffe
	v_fma_f64 v[35:36], v[43:44], s[18:19], -v[106:107]
	v_fma_f64 v[43:44], v[57:58], s[14:15], -v[91:92]
	v_add_f64_e32 v[14:15], v[14:15], v[24:25]
	v_fma_f64 v[22:23], v[79:80], s[10:11], v[59:60]
	v_fma_f64 v[24:25], v[67:68], s[12:13], -v[73:74]
	v_fma_f64 v[73:74], v[83:84], s[2:3], -v[75:76]
	v_fma_f64 v[41:42], v[41:42], s[4:5], v[4:5]
	v_fma_f64 v[51:52], v[51:52], s[10:11], v[55:56]
	v_fma_f64 v[57:58], v[77:78], s[16:17], v[61:62]
	v_fma_f64 v[61:62], v[71:72], s[2:3], -v[61:62]
	v_fma_f64 v[49:50], v[49:50], s[4:5], v[6:7]
	v_fma_f64 v[71:72], v[77:78], s[18:19], -v[108:109]
	v_fma_f64 v[55:56], v[63:64], s[14:15], -v[55:56]
	;; [unrolled: 1-line block ×3, first 2 shown]
	v_fma_f64 v[65:66], v[16:17], s[16:17], v[75:76]
	v_fma_f64 v[16:17], v[16:17], s[18:19], -v[39:40]
	v_fma_f64 v[26:27], v[26:27], s[4:5], v[81:82]
	v_fma_f64 v[39:40], v[67:68], s[14:15], -v[59:60]
	v_fma_f64 v[53:54], v[53:54], s[10:11], v[45:46]
	v_fma_f64 v[59:60], v[18:19], s[16:17], v[47:48]
	v_fma_f64 v[47:48], v[89:90], s[2:3], -v[47:48]
	v_fma_f64 v[18:19], v[18:19], s[18:19], -v[87:88]
	v_fma_f64 v[29:30], v[29:30], s[4:5], v[110:111]
	v_fma_f64 v[45:46], v[69:70], s[14:15], -v[45:46]
	v_fma_f64 v[67:68], v[69:70], s[12:13], -v[85:86]
	v_fma_f64 v[69:70], v[37:38], s[24:25], v[93:94]
	v_fma_f64 v[33:34], v[37:38], s[24:25], v[33:34]
	;; [unrolled: 1-line block ×3, first 2 shown]
	v_add_f64_e32 v[10:11], v[10:11], v[41:42]
	v_add_f64_e32 v[37:38], v[43:44], v[41:42]
	;; [unrolled: 1-line block ×3, first 2 shown]
	v_fma_f64 v[41:42], v[8:9], s[24:25], v[57:58]
	v_add_f64_e32 v[51:52], v[51:52], v[49:50]
	v_fma_f64 v[43:44], v[8:9], s[24:25], v[61:62]
	v_fma_f64 v[8:9], v[8:9], s[24:25], v[71:72]
	v_add_f64_e32 v[55:56], v[55:56], v[49:50]
	v_add_f64_e32 v[49:50], v[63:64], v[49:50]
	v_fma_f64 v[57:58], v[12:13], s[24:25], v[65:66]
	v_fma_f64 v[61:62], v[12:13], s[24:25], v[73:74]
	;; [unrolled: 1-line block ×3, first 2 shown]
	v_add_f64_e32 v[16:17], v[22:23], v[26:27]
	v_add_f64_e32 v[22:23], v[39:40], v[26:27]
	;; [unrolled: 1-line block ×3, first 2 shown]
	v_fma_f64 v[26:27], v[14:15], s[24:25], v[59:60]
	v_fma_f64 v[39:40], v[14:15], s[24:25], v[47:48]
	;; [unrolled: 1-line block ×3, first 2 shown]
	v_add_f64_e32 v[18:19], v[53:54], v[29:30]
	v_add_f64_e32 v[45:46], v[45:46], v[29:30]
	;; [unrolled: 1-line block ×3, first 2 shown]
	v_add3_u32 v73, 0, v0, v2
	v_add3_u32 v74, 0, v1, v3
	v_add_f64_e32 v[47:48], v[69:70], v[10:11]
	v_add_f64_e32 v[53:54], v[35:36], v[37:38]
	v_add_f64_e64 v[59:60], v[31:32], -v[33:34]
	v_add_f64_e32 v[31:32], v[33:34], v[31:32]
	v_add_f64_e64 v[33:34], v[37:38], -v[35:36]
	v_add_f64_e64 v[10:11], v[10:11], -v[69:70]
	v_add_f64_e32 v[35:36], v[41:42], v[51:52]
	v_add_f64_e32 v[37:38], v[8:9], v[55:56]
	v_add_f64_e64 v[63:64], v[49:50], -v[43:44]
	v_add_f64_e32 v[43:44], v[43:44], v[49:50]
	v_add_f64_e64 v[8:9], v[55:56], -v[8:9]
	v_add_f64_e64 v[41:42], v[51:52], -v[41:42]
	;; [unrolled: 1-line block ×4, first 2 shown]
	v_add_f64_e32 v[55:56], v[61:62], v[24:25]
	v_add_f64_e64 v[61:62], v[24:25], -v[61:62]
	v_add_f64_e32 v[65:66], v[12:13], v[22:23]
	v_add_f64_e32 v[57:58], v[57:58], v[16:17]
	v_add_f64_e64 v[67:68], v[18:19], -v[26:27]
	v_add_f64_e64 v[69:70], v[45:46], -v[14:15]
	v_add_f64_e32 v[71:72], v[39:40], v[29:30]
	v_add_f64_e64 v[29:30], v[29:30], -v[39:40]
	v_add_f64_e32 v[39:40], v[14:15], v[45:46]
	v_add_f64_e32 v[45:46], v[26:27], v[18:19]
	ds_store_2addr_b64 v73, v[4:5], v[47:48] offset1:34
	ds_store_2addr_b64 v73, v[53:54], v[59:60] offset0:68 offset1:102
	ds_store_2addr_b64 v73, v[31:32], v[33:34] offset0:136 offset1:170
	ds_store_b64 v73, v[10:11] offset:1632
	ds_store_2addr_b64 v74, v[6:7], v[35:36] offset1:34
	ds_store_2addr_b64 v74, v[37:38], v[63:64] offset0:68 offset1:102
	ds_store_2addr_b64 v74, v[43:44], v[8:9] offset0:136 offset1:170
	ds_store_b64 v74, v[41:42] offset:1632
	global_wb scope:SCOPE_SE
	s_wait_dscnt 0x0
	s_barrier_signal -1
	s_barrier_wait -1
	global_inv scope:SCOPE_SE
	ds_load_2addr_b64 v[0:3], v99 offset1:119
	ds_load_2addr_b64 v[12:15], v103 offset0:110 offset1:229
	ds_load_2addr_b64 v[16:19], v105 offset0:92 offset1:211
	;; [unrolled: 1-line block ×6, first 2 shown]
	global_wb scope:SCOPE_SE
	s_wait_dscnt 0x0
	s_barrier_signal -1
	s_barrier_wait -1
	global_inv scope:SCOPE_SE
	ds_store_2addr_b64 v73, v[81:82], v[49:50] offset1:34
	ds_store_2addr_b64 v73, v[51:52], v[55:56] offset0:68 offset1:102
	ds_store_2addr_b64 v73, v[61:62], v[65:66] offset0:136 offset1:170
	ds_store_b64 v73, v[57:58] offset:1632
	ds_store_2addr_b64 v74, v[110:111], v[67:68] offset1:34
	ds_store_2addr_b64 v74, v[69:70], v[71:72] offset0:68 offset1:102
	ds_store_2addr_b64 v74, v[29:30], v[39:40] offset0:136 offset1:170
	ds_store_b64 v74, v[45:46] offset:1632
	global_wb scope:SCOPE_SE
	s_wait_dscnt 0x0
	s_barrier_signal -1
	s_barrier_wait -1
	global_inv scope:SCOPE_SE
	s_and_saveexec_b32 s26, vcc_lo
	s_cbranch_execz .LBB0_17
; %bb.16:
	v_mul_u32_u24_e32 v29, 6, v28
	v_mul_u32_u24_e32 v30, 6, v98
	v_add_nc_u32_e32 v77, 0xc00, v99
	v_add_nc_u32_e32 v81, 0x2400, v99
	;; [unrolled: 1-line block ×3, first 2 shown]
	v_lshlrev_b32_e32 v65, 4, v29
	v_lshlrev_b32_e32 v73, 4, v30
	v_add_nc_u32_e32 v85, 0x400, v99
	v_add_nc_u32_e32 v130, 0x1400, v99
	s_clause 0xb
	global_load_b128 v[29:32], v65, s[8:9] offset:3552
	global_load_b128 v[33:36], v65, s[8:9] offset:3600
	;; [unrolled: 1-line block ×12, first 2 shown]
	ds_load_2addr_b64 v[77:80], v77 offset0:92 offset1:211
	ds_load_2addr_b64 v[81:84], v81 offset0:38 offset1:157
	;; [unrolled: 1-line block ×3, first 2 shown]
	s_wait_loadcnt 0xb
	v_mul_f64_e32 v[89:90], v[18:19], v[31:32]
	s_wait_loadcnt 0xa
	v_mul_f64_e32 v[91:92], v[26:27], v[35:36]
	;; [unrolled: 2-line block ×8, first 2 shown]
	v_mul_f64_e32 v[16:17], v[16:17], v[45:46]
	v_mul_f64_e32 v[24:25], v[24:25], v[49:50]
	;; [unrolled: 1-line block ×8, first 2 shown]
	ds_load_2addr_b64 v[12:15], v95 offset0:20 offset1:139
	s_wait_loadcnt 0x3
	v_mul_f64_e32 v[116:117], v[6:7], v[61:62]
	s_wait_loadcnt 0x2
	v_mul_f64_e32 v[118:119], v[10:11], v[65:66]
	v_mul_f64_e32 v[120:121], v[10:11], v[67:68]
	;; [unrolled: 1-line block ×3, first 2 shown]
	s_wait_loadcnt 0x1
	v_mul_f64_e32 v[124:125], v[4:5], v[69:70]
	s_wait_loadcnt 0x0
	v_mul_f64_e32 v[126:127], v[8:9], v[73:74]
	v_mul_f64_e32 v[128:129], v[8:9], v[75:76]
	v_add_nc_u32_e32 v95, 0x1c00, v99
	s_wait_dscnt 0x3
	v_fma_f64 v[29:30], v[79:80], v[29:30], -v[89:90]
	s_wait_dscnt 0x2
	v_fma_f64 v[33:34], v[83:84], v[33:34], -v[91:92]
	;; [unrolled: 2-line block ×4, first 2 shown]
	v_mul_f64_e32 v[89:90], v[4:5], v[71:72]
	v_fma_f64 v[45:46], v[77:78], v[45:46], -v[104:105]
	v_fma_f64 v[49:50], v[81:82], v[49:50], -v[106:107]
	;; [unrolled: 1-line block ×4, first 2 shown]
	v_fma_f64 v[16:17], v[77:78], v[47:48], v[16:17]
	v_fma_f64 v[24:25], v[81:82], v[51:52], v[24:25]
	;; [unrolled: 1-line block ×8, first 2 shown]
	ds_load_2addr_b64 v[4:7], v95 offset0:56 offset1:175
	ds_load_2addr_b64 v[8:11], v130 offset0:74 offset1:193
	s_wait_dscnt 0x1
	v_fma_f64 v[22:23], v[6:7], v[63:64], v[116:117]
	s_wait_dscnt 0x0
	v_fma_f64 v[31:32], v[10:11], v[67:68], v[118:119]
	v_fma_f64 v[10:11], v[10:11], v[65:66], -v[120:121]
	v_fma_f64 v[6:7], v[6:7], v[61:62], -v[122:123]
	v_fma_f64 v[35:36], v[4:5], v[71:72], v[124:125]
	v_fma_f64 v[39:40], v[8:9], v[75:76], v[126:127]
	v_fma_f64 v[8:9], v[8:9], v[73:74], -v[128:129]
	v_add_f64_e32 v[43:44], v[29:30], v[33:34]
	v_add_f64_e32 v[51:52], v[37:38], v[41:42]
	v_fma_f64 v[4:5], v[4:5], v[69:70], -v[89:90]
	v_add_f64_e32 v[55:56], v[45:46], v[49:50]
	v_add_f64_e32 v[59:60], v[53:54], v[57:58]
	;; [unrolled: 1-line block ×3, first 2 shown]
	v_add_f64_e64 v[16:17], v[16:17], -v[24:25]
	v_add_f64_e32 v[63:64], v[47:48], v[12:13]
	v_add_f64_e64 v[12:13], v[47:48], -v[12:13]
	v_add_f64_e32 v[65:66], v[18:19], v[20:21]
	;; [unrolled: 2-line block ×3, first 2 shown]
	v_add_f64_e64 v[14:15], v[26:27], -v[14:15]
	v_add_f64_e64 v[45:46], v[45:46], -v[49:50]
	;; [unrolled: 1-line block ×4, first 2 shown]
	v_add_f64_e32 v[22:23], v[22:23], v[31:32]
	v_add_f64_e32 v[20:21], v[6:7], v[10:11]
	v_add_f64_e64 v[31:32], v[6:7], -v[10:11]
	v_add_f64_e64 v[26:27], v[35:36], -v[39:40]
	v_add_f64_e32 v[35:36], v[35:36], v[39:40]
	v_add_f64_e64 v[10:11], v[29:30], -v[33:34]
	v_add_f64_e32 v[24:25], v[43:44], v[51:52]
	v_add_f64_e32 v[71:72], v[4:5], v[8:9]
	v_add_f64_e64 v[8:9], v[4:5], -v[8:9]
	v_add_f64_e32 v[39:40], v[55:56], v[59:60]
	v_add_f64_e64 v[29:30], v[37:38], -v[41:42]
	;; [unrolled: 2-line block ×4, first 2 shown]
	v_add_f64_e64 v[79:80], v[45:46], -v[47:48]
	v_add_f64_e64 v[37:38], v[69:70], -v[18:19]
	v_add_f64_e64 v[83:84], v[67:68], -v[22:23]
	v_add_f64_e64 v[41:42], v[51:52], -v[20:21]
	v_add_f64_e64 v[53:54], v[20:21], -v[43:44]
	v_add_f64_e64 v[57:58], v[26:27], -v[16:17]
	v_add_f64_e64 v[73:74], v[63:64], -v[35:36]
	v_add_f64_e64 v[85:86], v[31:32], -v[10:11]
	v_add_f64_e32 v[20:21], v[20:21], v[24:25]
	v_add_f64_e64 v[24:25], v[59:60], -v[71:72]
	v_add_f64_e64 v[77:78], v[8:9], -v[45:46]
	v_add_f64_e32 v[39:40], v[71:72], v[39:40]
	v_add_f64_e64 v[71:72], v[71:72], -v[55:56]
	v_add_f64_e64 v[87:88], v[10:11], -v[29:30]
	v_add_f64_e32 v[81:82], v[35:36], v[4:5]
	v_add_f64_e64 v[35:36], v[35:36], -v[61:62]
	ds_load_2addr_b64 v[4:7], v99 offset1:119
	v_mov_b32_e32 v99, 0
	v_add_f64_e32 v[33:34], v[22:23], v[33:34]
	v_add_f64_e64 v[22:23], v[22:23], -v[65:66]
	v_add_f64_e32 v[18:19], v[69:70], v[18:19]
	v_add_f64_e64 v[69:70], v[14:15], -v[69:70]
	v_add_f64_e32 v[89:90], v[31:32], v[10:11]
	v_add_f64_e32 v[16:17], v[26:27], v[16:17]
	;; [unrolled: 1-line block ×3, first 2 shown]
	v_mul_f64_e32 v[91:92], s[2:3], v[49:50]
	v_add_f64_e64 v[43:44], v[43:44], -v[51:52]
	v_add_f64_e64 v[26:27], v[12:13], -v[26:27]
	v_mul_f64_e32 v[93:94], s[2:3], v[75:76]
	v_add_f64_e64 v[102:103], v[47:48], -v[8:9]
	v_add_f64_e64 v[55:56], v[55:56], -v[59:60]
	v_mul_f64_e32 v[104:105], s[2:3], v[79:80]
	v_add_f64_e64 v[31:32], v[29:30], -v[31:32]
	v_mul_f64_e32 v[37:38], s[22:23], v[37:38]
	v_mul_f64_e32 v[41:42], s[20:21], v[41:42]
	;; [unrolled: 1-line block ×5, first 2 shown]
	s_wait_dscnt 0x0
	v_add_f64_e32 v[6:7], v[6:7], v[20:21]
	v_mul_f64_e32 v[24:25], s[20:21], v[24:25]
	v_mul_f64_e32 v[77:78], s[22:23], v[77:78]
	v_add_f64_e32 v[10:11], v[4:5], v[39:40]
	v_mul_f64_e32 v[59:60], s[10:11], v[71:72]
	v_add_f64_e32 v[8:9], v[0:1], v[81:82]
	v_add_f64_e64 v[0:1], v[61:62], -v[63:64]
	v_mul_f64_e32 v[61:62], s[10:11], v[35:36]
	v_mul_f64_e32 v[63:64], s[20:21], v[83:84]
	;; [unrolled: 1-line block ×3, first 2 shown]
	v_add_f64_e32 v[4:5], v[2:3], v[33:34]
	v_mul_f64_e32 v[85:86], s[2:3], v[87:88]
	v_add_f64_e64 v[2:3], v[65:66], -v[67:68]
	v_mul_f64_e32 v[65:66], s[10:11], v[22:23]
	v_add_f64_e32 v[14:15], v[18:19], v[14:15]
	v_add_f64_e32 v[18:19], v[89:90], v[29:30]
	;; [unrolled: 1-line block ×4, first 2 shown]
	v_fma_f64 v[47:48], v[69:70], s[18:19], -v[91:92]
	v_fma_f64 v[29:30], v[69:70], s[16:17], v[37:38]
	v_fma_f64 v[37:38], v[49:50], s[2:3], -v[37:38]
	v_fma_f64 v[45:46], v[53:54], s[10:11], v[41:42]
	v_fma_f64 v[41:42], v[43:44], s[14:15], -v[41:42]
	v_fma_f64 v[43:44], v[43:44], s[12:13], -v[51:52]
	v_fma_f64 v[49:50], v[26:27], s[16:17], v[57:58]
	v_fma_f64 v[35:36], v[35:36], s[10:11], v[73:74]
	;; [unrolled: 1-line block ×4, first 2 shown]
	v_fma_f64 v[26:27], v[26:27], s[18:19], -v[93:94]
	v_fma_f64 v[53:54], v[75:76], s[2:3], -v[57:58]
	v_fma_f64 v[39:40], v[39:40], s[4:5], v[10:11]
	v_fma_f64 v[24:25], v[55:56], s[14:15], -v[24:25]
	v_fma_f64 v[55:56], v[55:56], s[12:13], -v[59:60]
	v_fma_f64 v[57:58], v[102:103], s[16:17], v[77:78]
	v_fma_f64 v[69:70], v[81:82], s[4:5], v[8:9]
	v_fma_f64 v[59:60], v[102:103], s[18:19], -v[104:105]
	v_fma_f64 v[71:72], v[0:1], s[14:15], -v[73:74]
	;; [unrolled: 1-line block ×4, first 2 shown]
	v_fma_f64 v[22:23], v[22:23], s[10:11], v[63:64]
	v_fma_f64 v[61:62], v[31:32], s[16:17], v[83:84]
	;; [unrolled: 1-line block ×3, first 2 shown]
	v_fma_f64 v[31:32], v[31:32], s[18:19], -v[85:86]
	v_fma_f64 v[63:64], v[2:3], s[14:15], -v[63:64]
	;; [unrolled: 1-line block ×4, first 2 shown]
	v_mad_co_u64_u32 v[77:78], null, s0, v100, 0
	v_fma_f64 v[65:66], v[14:15], s[24:25], v[29:30]
	v_fma_f64 v[29:30], v[14:15], s[24:25], v[47:48]
	;; [unrolled: 1-line block ×4, first 2 shown]
	v_add_f64_e32 v[75:76], v[45:46], v[20:21]
	v_add_f64_e32 v[41:42], v[41:42], v[20:21]
	;; [unrolled: 1-line block ×3, first 2 shown]
	v_fma_f64 v[44:45], v[12:13], s[24:25], v[26:27]
	v_fma_f64 v[12:13], v[12:13], s[24:25], v[53:54]
	v_add_f64_e32 v[50:51], v[51:52], v[39:40]
	v_add_f64_e32 v[46:47], v[55:56], v[39:40]
	v_fma_f64 v[52:53], v[16:17], s[24:25], v[57:58]
	v_add_f64_e32 v[56:57], v[35:36], v[69:70]
	v_add_f64_e32 v[24:25], v[24:25], v[39:40]
	v_fma_f64 v[54:55], v[16:17], s[24:25], v[59:60]
	v_add_f64_e32 v[58:59], v[71:72], v[69:70]
	v_fma_f64 v[16:17], v[16:17], s[24:25], v[67:68]
	;; [unrolled: 2-line block ×5, first 2 shown]
	v_add_f64_e32 v[73:74], v[2:3], v[33:34]
	v_mul_lo_u32 v2, s1, v100
	v_mul_lo_u32 v3, s0, v101
	v_mul_hi_u32 v64, 0x44d72045, v28
	s_delay_alu instid0(VALU_DEP_2)
	v_add3_u32 v78, v78, v3, v2
	v_add_f64_e32 v[2:3], v[65:66], v[75:76]
	v_add_f64_e32 v[14:15], v[29:30], v[41:42]
	v_add_f64_e64 v[26:27], v[41:42], -v[29:30]
	v_add_f64_e64 v[18:19], v[20:21], -v[37:38]
	v_add_f64_e32 v[22:23], v[37:38], v[20:21]
	v_add_f64_e32 v[30:31], v[48:49], v[50:51]
	v_add_f64_e64 v[50:51], v[50:51], -v[48:49]
	v_add_f64_e64 v[38:39], v[46:47], -v[12:13]
	v_add_f64_e32 v[48:49], v[52:53], v[56:57]
	v_add_f64_e32 v[34:35], v[44:45], v[24:25]
	;; [unrolled: 1-line block ×3, first 2 shown]
	v_add_f64_e64 v[46:47], v[24:25], -v[44:45]
	v_add_f64_e32 v[44:45], v[54:55], v[58:59]
	v_add_f64_e64 v[40:41], v[0:1], -v[16:17]
	v_add_f64_e32 v[36:37], v[16:17], v[0:1]
	v_add_f64_e64 v[32:33], v[58:59], -v[54:55]
	v_add_f64_e64 v[28:29], v[56:57], -v[52:53]
	;; [unrolled: 1-line block ×3, first 2 shown]
	v_add_f64_e32 v[52:53], v[60:61], v[71:72]
	v_add_f64_e32 v[24:25], v[67:68], v[62:63]
	v_add_f64_e64 v[20:21], v[73:74], -v[69:70]
	v_add_f64_e32 v[16:17], v[69:70], v[73:74]
	v_add_f64_e64 v[12:13], v[62:63], -v[67:68]
	v_add_f64_e64 v[0:1], v[71:72], -v[60:61]
	v_lshlrev_b64_e32 v[56:57], 4, v[77:78]
	v_lshlrev_b64_e32 v[58:59], 4, v[96:97]
	v_lshrrev_b32_e32 v62, 6, v64
	v_lshlrev_b64_e32 v[60:61], 4, v[98:99]
	s_delay_alu instid0(VALU_DEP_4) | instskip(SKIP_3) | instid1(VALU_DEP_3)
	v_add_co_u32 v56, vcc_lo, s6, v56
	s_wait_alu 0xfffd
	v_add_co_ci_u32_e32 v57, vcc_lo, s7, v57, vcc_lo
	v_mul_u32_u24_e32 v98, 0x594, v62
	v_add_co_u32 v58, vcc_lo, v56, v58
	s_wait_alu 0xfffd
	s_delay_alu instid0(VALU_DEP_3) | instskip(NEXT) | instid1(VALU_DEP_3)
	v_add_co_ci_u32_e32 v59, vcc_lo, v57, v59, vcc_lo
	v_lshlrev_b64_e32 v[56:57], 4, v[98:99]
	s_delay_alu instid0(VALU_DEP_3) | instskip(SKIP_1) | instid1(VALU_DEP_3)
	v_add_co_u32 v58, vcc_lo, v58, v60
	s_wait_alu 0xfffd
	v_add_co_ci_u32_e32 v59, vcc_lo, v59, v61, vcc_lo
	s_delay_alu instid0(VALU_DEP_2) | instskip(SKIP_1) | instid1(VALU_DEP_2)
	v_add_co_u32 v56, vcc_lo, v58, v56
	s_wait_alu 0xfffd
	v_add_co_ci_u32_e32 v57, vcc_lo, v59, v57, vcc_lo
	s_clause 0xd
	global_store_b128 v[58:59], v[8:11], off
	global_store_b128 v[58:59], v[48:51], off offset:3808
	global_store_b128 v[58:59], v[44:47], off offset:7616
	;; [unrolled: 1-line block ×13, first 2 shown]
.LBB0_17:
	s_nop 0
	s_sendmsg sendmsg(MSG_DEALLOC_VGPRS)
	s_endpgm
	.section	.rodata,"a",@progbits
	.p2align	6, 0x0
	.amdhsa_kernel fft_rtc_back_len1666_factors_17_2_7_7_wgs_119_tpt_119_halfLds_dp_op_CI_CI_unitstride_sbrr_dirReg
		.amdhsa_group_segment_fixed_size 0
		.amdhsa_private_segment_fixed_size 0
		.amdhsa_kernarg_size 104
		.amdhsa_user_sgpr_count 2
		.amdhsa_user_sgpr_dispatch_ptr 0
		.amdhsa_user_sgpr_queue_ptr 0
		.amdhsa_user_sgpr_kernarg_segment_ptr 1
		.amdhsa_user_sgpr_dispatch_id 0
		.amdhsa_user_sgpr_private_segment_size 0
		.amdhsa_wavefront_size32 1
		.amdhsa_uses_dynamic_stack 0
		.amdhsa_enable_private_segment 0
		.amdhsa_system_sgpr_workgroup_id_x 1
		.amdhsa_system_sgpr_workgroup_id_y 0
		.amdhsa_system_sgpr_workgroup_id_z 0
		.amdhsa_system_sgpr_workgroup_info 0
		.amdhsa_system_vgpr_workitem_id 0
		.amdhsa_next_free_vgpr 214
		.amdhsa_next_free_sgpr 60
		.amdhsa_reserve_vcc 1
		.amdhsa_float_round_mode_32 0
		.amdhsa_float_round_mode_16_64 0
		.amdhsa_float_denorm_mode_32 3
		.amdhsa_float_denorm_mode_16_64 3
		.amdhsa_fp16_overflow 0
		.amdhsa_workgroup_processor_mode 1
		.amdhsa_memory_ordered 1
		.amdhsa_forward_progress 0
		.amdhsa_round_robin_scheduling 0
		.amdhsa_exception_fp_ieee_invalid_op 0
		.amdhsa_exception_fp_denorm_src 0
		.amdhsa_exception_fp_ieee_div_zero 0
		.amdhsa_exception_fp_ieee_overflow 0
		.amdhsa_exception_fp_ieee_underflow 0
		.amdhsa_exception_fp_ieee_inexact 0
		.amdhsa_exception_int_div_zero 0
	.end_amdhsa_kernel
	.text
.Lfunc_end0:
	.size	fft_rtc_back_len1666_factors_17_2_7_7_wgs_119_tpt_119_halfLds_dp_op_CI_CI_unitstride_sbrr_dirReg, .Lfunc_end0-fft_rtc_back_len1666_factors_17_2_7_7_wgs_119_tpt_119_halfLds_dp_op_CI_CI_unitstride_sbrr_dirReg
                                        ; -- End function
	.section	.AMDGPU.csdata,"",@progbits
; Kernel info:
; codeLenInByte = 12316
; NumSgprs: 62
; NumVgprs: 214
; ScratchSize: 0
; MemoryBound: 1
; FloatMode: 240
; IeeeMode: 1
; LDSByteSize: 0 bytes/workgroup (compile time only)
; SGPRBlocks: 7
; VGPRBlocks: 26
; NumSGPRsForWavesPerEU: 62
; NumVGPRsForWavesPerEU: 214
; Occupancy: 7
; WaveLimiterHint : 1
; COMPUTE_PGM_RSRC2:SCRATCH_EN: 0
; COMPUTE_PGM_RSRC2:USER_SGPR: 2
; COMPUTE_PGM_RSRC2:TRAP_HANDLER: 0
; COMPUTE_PGM_RSRC2:TGID_X_EN: 1
; COMPUTE_PGM_RSRC2:TGID_Y_EN: 0
; COMPUTE_PGM_RSRC2:TGID_Z_EN: 0
; COMPUTE_PGM_RSRC2:TIDIG_COMP_CNT: 0
	.text
	.p2alignl 7, 3214868480
	.fill 96, 4, 3214868480
	.type	__hip_cuid_a15926d684ab096f,@object ; @__hip_cuid_a15926d684ab096f
	.section	.bss,"aw",@nobits
	.globl	__hip_cuid_a15926d684ab096f
__hip_cuid_a15926d684ab096f:
	.byte	0                               ; 0x0
	.size	__hip_cuid_a15926d684ab096f, 1

	.ident	"AMD clang version 19.0.0git (https://github.com/RadeonOpenCompute/llvm-project roc-6.4.0 25133 c7fe45cf4b819c5991fe208aaa96edf142730f1d)"
	.section	".note.GNU-stack","",@progbits
	.addrsig
	.addrsig_sym __hip_cuid_a15926d684ab096f
	.amdgpu_metadata
---
amdhsa.kernels:
  - .args:
      - .actual_access:  read_only
        .address_space:  global
        .offset:         0
        .size:           8
        .value_kind:     global_buffer
      - .offset:         8
        .size:           8
        .value_kind:     by_value
      - .actual_access:  read_only
        .address_space:  global
        .offset:         16
        .size:           8
        .value_kind:     global_buffer
      - .actual_access:  read_only
        .address_space:  global
        .offset:         24
        .size:           8
        .value_kind:     global_buffer
      - .actual_access:  read_only
        .address_space:  global
        .offset:         32
        .size:           8
        .value_kind:     global_buffer
      - .offset:         40
        .size:           8
        .value_kind:     by_value
      - .actual_access:  read_only
        .address_space:  global
        .offset:         48
        .size:           8
        .value_kind:     global_buffer
      - .actual_access:  read_only
        .address_space:  global
        .offset:         56
        .size:           8
        .value_kind:     global_buffer
      - .offset:         64
        .size:           4
        .value_kind:     by_value
      - .actual_access:  read_only
        .address_space:  global
        .offset:         72
        .size:           8
        .value_kind:     global_buffer
      - .actual_access:  read_only
        .address_space:  global
        .offset:         80
        .size:           8
        .value_kind:     global_buffer
      - .actual_access:  read_only
        .address_space:  global
        .offset:         88
        .size:           8
        .value_kind:     global_buffer
      - .actual_access:  write_only
        .address_space:  global
        .offset:         96
        .size:           8
        .value_kind:     global_buffer
    .group_segment_fixed_size: 0
    .kernarg_segment_align: 8
    .kernarg_segment_size: 104
    .language:       OpenCL C
    .language_version:
      - 2
      - 0
    .max_flat_workgroup_size: 119
    .name:           fft_rtc_back_len1666_factors_17_2_7_7_wgs_119_tpt_119_halfLds_dp_op_CI_CI_unitstride_sbrr_dirReg
    .private_segment_fixed_size: 0
    .sgpr_count:     62
    .sgpr_spill_count: 0
    .symbol:         fft_rtc_back_len1666_factors_17_2_7_7_wgs_119_tpt_119_halfLds_dp_op_CI_CI_unitstride_sbrr_dirReg.kd
    .uniform_work_group_size: 1
    .uses_dynamic_stack: false
    .vgpr_count:     214
    .vgpr_spill_count: 0
    .wavefront_size: 32
    .workgroup_processor_mode: 1
amdhsa.target:   amdgcn-amd-amdhsa--gfx1201
amdhsa.version:
  - 1
  - 2
...

	.end_amdgpu_metadata
